;; amdgpu-corpus repo=ROCm/rocFFT kind=compiled arch=gfx1030 opt=O3
	.text
	.amdgcn_target "amdgcn-amd-amdhsa--gfx1030"
	.amdhsa_code_object_version 6
	.protected	bluestein_single_fwd_len289_dim1_dp_op_CI_CI ; -- Begin function bluestein_single_fwd_len289_dim1_dp_op_CI_CI
	.globl	bluestein_single_fwd_len289_dim1_dp_op_CI_CI
	.p2align	8
	.type	bluestein_single_fwd_len289_dim1_dp_op_CI_CI,@function
bluestein_single_fwd_len289_dim1_dp_op_CI_CI: ; @bluestein_single_fwd_len289_dim1_dp_op_CI_CI
; %bb.0:
	s_load_dwordx4 s[12:15], s[4:5], 0x28
	v_mul_u32_u24_e32 v1, 0xf10, v0
	s_mov_b64 s[58:59], s[2:3]
	s_mov_b64 s[56:57], s[0:1]
	s_mov_b32 s0, exec_lo
	s_add_u32 s56, s56, s7
	v_lshrrev_b32_e32 v1, 16, v1
	s_addc_u32 s57, s57, 0
	v_mad_u64_u32 v[2:3], null, s6, 7, v[1:2]
	v_mov_b32_e32 v3, 0
	s_waitcnt lgkmcnt(0)
	v_cmpx_gt_u64_e64 s[12:13], v[2:3]
	s_cbranch_execz .LBB0_2
; %bb.1:
	s_clause 0x2
	s_load_dwordx4 s[8:11], s[4:5], 0x0
	s_load_dwordx4 s[16:19], s[4:5], 0x18
	s_load_dwordx2 s[12:13], s[4:5], 0x38
	v_mul_hi_u32 v3, 0x24924925, v2
	v_mul_lo_u16 v1, v1, 17
	s_mov_b32 s46, 0x5d8e7cdc
	s_mov_b32 s30, 0x2a9d6da3
	;; [unrolled: 1-line block ×4, first 2 shown]
	v_sub_nc_u16 v152, v0, v1
	s_mov_b32 s50, 0xacd6c6b4
	v_sub_nc_u32_e32 v4, v2, v3
	s_mov_b32 s47, 0xbfd71e95
	s_mov_b32 s31, 0xbfe58eea
	v_and_b32_e32 v255, 0xffff, v152
	s_mov_b32 s25, 0xbfe9895b
	v_lshrrev_b32_e32 v4, 1, v4
	s_mov_b32 s35, 0xbfe0d888
	s_mov_b32 s51, 0xbfc7851a
	v_lshlrev_b32_e32 v10, 4, v255
	s_mov_b32 s42, 0x370991
	s_waitcnt lgkmcnt(0)
	s_load_dwordx4 s[0:3], s[18:19], 0x0
	v_add_nc_u32_e32 v3, v4, v3
	s_mov_b32 s18, 0x7c9e640b
	s_mov_b32 s19, 0xbfeca52d
	;; [unrolled: 1-line block ×4, first 2 shown]
	v_lshrrev_b32_e32 v3, 2, v3
	s_mov_b32 s36, 0x910ea3b9
	s_mov_b32 s52, 0x7faef3
	;; [unrolled: 1-line block ×4, first 2 shown]
	v_mul_lo_u32 v3, v3, 7
	s_mov_b32 s27, 0xbfe348c8
	s_mov_b32 s37, 0xbfeb34fa
	;; [unrolled: 1-line block ×7, first 2 shown]
	v_sub_nc_u32_e32 v3, v2, v3
	s_waitcnt lgkmcnt(0)
	v_mad_u64_u32 v[7:8], null, s2, v2, 0
	v_add_co_u32 v12, s2, s8, v10
	v_mul_u32_u24_e32 v6, 0x121, v3
	v_add_co_ci_u32_e64 v235, null, s9, 0, s2
	s_mov_b32 s49, 0x3fd71e95
	v_mov_b32_e32 v3, v8
	v_lshlrev_b32_e32 v153, 4, v6
	s_mov_b32 s48, s46
	s_mov_b32 s55, 0x3fc7851a
	;; [unrolled: 1-line block ×3, first 2 shown]
	v_mad_u64_u32 v[3:4], null, s3, v2, v[3:4]
	v_add_nc_u32_e32 v232, v10, v153
	s_mov_b32 s39, 0x3fe58eea
	s_mov_b32 s38, s30
	;; [unrolled: 1-line block ×5, first 2 shown]
	v_mov_b32_e32 v8, v3
	buffer_store_dword v7, off, s[56:59], 0 offset:64 ; 4-byte Folded Spill
	buffer_store_dword v8, off, s[56:59], 0 offset:68 ; 4-byte Folded Spill
	s_load_dwordx4 s[4:7], s[16:17], 0x0
	global_load_dwordx4 v[64:67], v10, s[8:9]
	s_mov_b32 s17, 0x3feec746
	s_waitcnt lgkmcnt(0)
	v_mad_u64_u32 v[3:4], null, s6, v2, 0
	v_mad_u64_u32 v[0:1], null, s4, v255, 0
	s_mul_i32 s2, s5, 0x110
	s_mul_hi_u32 s3, s4, 0x110
	s_add_i32 s2, s3, s2
	v_mad_u64_u32 v[4:5], null, s7, v2, v[4:5]
	v_mad_u64_u32 v[1:2], null, s5, v255, v[1:2]
	s_mul_i32 s3, s4, 0x110
	s_mov_b32 s4, 0xeb564b22
	s_mov_b32 s6, 0x923c349f
	;; [unrolled: 1-line block ×3, first 2 shown]
	v_lshlrev_b64 v[2:3], 4, v[3:4]
	s_mov_b32 s7, 0xbfeec746
	v_lshlrev_b64 v[0:1], 4, v[0:1]
	s_mov_b32 s16, s6
	s_mov_b32 s20, s4
	v_add_co_u32 v2, vcc_lo, s14, v2
	v_add_co_ci_u32_e32 v3, vcc_lo, s15, v3, vcc_lo
	s_mov_b32 s14, 0x2b2883cd
	v_add_co_u32 v8, vcc_lo, v2, v0
	v_add_co_ci_u32_e32 v9, vcc_lo, v3, v1, vcc_lo
	s_mov_b32 s15, 0x3fdc86fa
	global_load_dwordx4 v[0:3], v[8:9], off
	v_add_co_u32 v8, vcc_lo, v8, s3
	v_add_co_ci_u32_e32 v9, vcc_lo, s2, v9, vcc_lo
	s_waitcnt vmcnt(0)
	v_mul_f64 v[4:5], v[2:3], v[66:67]
	v_fma_f64 v[4:5], v[0:1], v[64:65], v[4:5]
	v_mul_f64 v[0:1], v[0:1], v[66:67]
	v_fma_f64 v[6:7], v[2:3], v[64:65], -v[0:1]
	ds_write_b128 v232, v[4:7]
	global_load_dwordx4 v[0:3], v[8:9], off
	global_load_dwordx4 v[60:63], v10, s[8:9] offset:272
	v_add_co_u32 v8, vcc_lo, v8, s3
	v_add_co_ci_u32_e32 v9, vcc_lo, s2, v9, vcc_lo
	s_waitcnt vmcnt(0)
	v_mul_f64 v[4:5], v[2:3], v[62:63]
	v_fma_f64 v[4:5], v[0:1], v[60:61], v[4:5]
	v_mul_f64 v[0:1], v[0:1], v[62:63]
	v_fma_f64 v[6:7], v[2:3], v[60:61], -v[0:1]
	ds_write_b128 v232, v[4:7] offset:272
	global_load_dwordx4 v[0:3], v[8:9], off
	global_load_dwordx4 v[36:39], v10, s[8:9] offset:544
	v_add_co_u32 v8, vcc_lo, v8, s3
	v_add_co_ci_u32_e32 v9, vcc_lo, s2, v9, vcc_lo
	s_waitcnt vmcnt(0)
	v_mul_f64 v[4:5], v[2:3], v[38:39]
	v_fma_f64 v[4:5], v[0:1], v[36:37], v[4:5]
	v_mul_f64 v[0:1], v[0:1], v[38:39]
	v_fma_f64 v[6:7], v[2:3], v[36:37], -v[0:1]
	ds_write_b128 v232, v[4:7] offset:544
	;; [unrolled: 10-line block ×6, first 2 shown]
	global_load_dwordx4 v[0:3], v[8:9], off
	global_load_dwordx4 v[48:51], v10, s[8:9] offset:1904
	v_add_co_u32 v8, vcc_lo, v8, s3
	v_add_co_ci_u32_e32 v9, vcc_lo, s2, v9, vcc_lo
	v_add_co_u32 v68, vcc_lo, 0x800, v12
	v_add_co_ci_u32_e32 v69, vcc_lo, 0, v235, vcc_lo
	s_mov_b32 s8, 0xc61f0d01
	s_mov_b32 s9, 0xbfd183b1
	global_load_dwordx4 v[52:55], v[68:69], off offset:128
	s_waitcnt vmcnt(1)
	v_mul_f64 v[4:5], v[2:3], v[50:51]
	v_fma_f64 v[4:5], v[0:1], v[48:49], v[4:5]
	v_mul_f64 v[0:1], v[0:1], v[50:51]
	v_fma_f64 v[6:7], v[2:3], v[48:49], -v[0:1]
	global_load_dwordx4 v[0:3], v[8:9], off
	v_add_co_u32 v8, vcc_lo, v8, s3
	v_add_co_ci_u32_e32 v9, vcc_lo, s2, v9, vcc_lo
	ds_write_b128 v232, v[4:7] offset:1904
	s_waitcnt vmcnt(0)
	v_mul_f64 v[4:5], v[2:3], v[54:55]
	v_fma_f64 v[4:5], v[0:1], v[52:53], v[4:5]
	v_mul_f64 v[0:1], v[0:1], v[54:55]
	v_fma_f64 v[6:7], v[2:3], v[52:53], -v[0:1]
	ds_write_b128 v232, v[4:7] offset:2176
	global_load_dwordx4 v[0:3], v[8:9], off
	global_load_dwordx4 v[28:31], v[68:69], off offset:400
	v_add_co_u32 v8, vcc_lo, v8, s3
	v_add_co_ci_u32_e32 v9, vcc_lo, s2, v9, vcc_lo
	s_waitcnt vmcnt(0)
	v_mul_f64 v[4:5], v[2:3], v[30:31]
	v_fma_f64 v[4:5], v[0:1], v[28:29], v[4:5]
	v_mul_f64 v[0:1], v[0:1], v[30:31]
	v_fma_f64 v[6:7], v[2:3], v[28:29], -v[0:1]
	ds_write_b128 v232, v[4:7] offset:2448
	global_load_dwordx4 v[0:3], v[8:9], off
	global_load_dwordx4 v[24:27], v[68:69], off offset:672
	v_add_co_u32 v8, vcc_lo, v8, s3
	v_add_co_ci_u32_e32 v9, vcc_lo, s2, v9, vcc_lo
	s_waitcnt vmcnt(0)
	v_mul_f64 v[4:5], v[2:3], v[26:27]
	v_fma_f64 v[4:5], v[0:1], v[24:25], v[4:5]
	v_mul_f64 v[0:1], v[0:1], v[26:27]
	v_fma_f64 v[6:7], v[2:3], v[24:25], -v[0:1]
	ds_write_b128 v232, v[4:7] offset:2720
	global_load_dwordx4 v[0:3], v[8:9], off
	global_load_dwordx4 v[16:19], v[68:69], off offset:944
	v_add_co_u32 v8, vcc_lo, v8, s3
	v_add_co_ci_u32_e32 v9, vcc_lo, s2, v9, vcc_lo
	s_waitcnt vmcnt(0)
	v_mul_f64 v[4:5], v[2:3], v[18:19]
	v_fma_f64 v[4:5], v[0:1], v[16:17], v[4:5]
	v_mul_f64 v[0:1], v[0:1], v[18:19]
	v_fma_f64 v[6:7], v[2:3], v[16:17], -v[0:1]
	ds_write_b128 v232, v[4:7] offset:2992
	global_load_dwordx4 v[0:3], v[8:9], off
	global_load_dwordx4 v[20:23], v[68:69], off offset:1216
	s_waitcnt vmcnt(0)
	buffer_store_dword v20, off, s[56:59], 0 offset:48 ; 4-byte Folded Spill
	buffer_store_dword v21, off, s[56:59], 0 offset:52 ; 4-byte Folded Spill
	;; [unrolled: 1-line block ×4, first 2 shown]
	v_mul_f64 v[4:5], v[2:3], v[22:23]
	v_fma_f64 v[4:5], v[0:1], v[20:21], v[4:5]
	v_mul_f64 v[0:1], v[0:1], v[22:23]
	v_fma_f64 v[6:7], v[2:3], v[20:21], -v[0:1]
	v_add_co_u32 v20, vcc_lo, v8, s3
	v_add_co_ci_u32_e32 v21, vcc_lo, s2, v9, vcc_lo
	v_add_co_u32 v70, vcc_lo, v20, s3
	v_add_co_ci_u32_e32 v71, vcc_lo, s2, v21, vcc_lo
	;; [unrolled: 2-line block ×3, first 2 shown]
	ds_write_b128 v232, v[4:7] offset:3264
	global_load_dwordx4 v[0:3], v[20:21], off
	global_load_dwordx4 v[6:9], v[68:69], off offset:1488
	s_waitcnt vmcnt(0)
	buffer_store_dword v6, off, s[56:59], 0 offset:32 ; 4-byte Folded Spill
	buffer_store_dword v7, off, s[56:59], 0 offset:36 ; 4-byte Folded Spill
	;; [unrolled: 1-line block ×4, first 2 shown]
	v_mul_f64 v[4:5], v[2:3], v[8:9]
	v_fma_f64 v[4:5], v[0:1], v[6:7], v[4:5]
	v_mul_f64 v[0:1], v[0:1], v[8:9]
	v_fma_f64 v[6:7], v[2:3], v[6:7], -v[0:1]
	ds_write_b128 v232, v[4:7] offset:3536
	global_load_dwordx4 v[0:3], v[70:71], off
	global_load_dwordx4 v[4:7], v[68:69], off offset:1760
	s_waitcnt vmcnt(0)
	buffer_store_dword v4, off, s[56:59], 0 offset:16 ; 4-byte Folded Spill
	buffer_store_dword v5, off, s[56:59], 0 offset:20 ; 4-byte Folded Spill
	;; [unrolled: 1-line block ×4, first 2 shown]
	v_mul_f64 v[20:21], v[2:3], v[6:7]
	v_fma_f64 v[20:21], v[0:1], v[4:5], v[20:21]
	v_mul_f64 v[0:1], v[0:1], v[6:7]
	v_fma_f64 v[22:23], v[2:3], v[4:5], -v[0:1]
	ds_write_b128 v232, v[20:23] offset:3808
	global_load_dwordx4 v[20:23], v[72:73], off
	global_load_dwordx4 v[0:3], v[68:69], off offset:2032
	s_waitcnt vmcnt(0)
	buffer_store_dword v0, off, s[56:59], 0 ; 4-byte Folded Spill
	buffer_store_dword v1, off, s[56:59], 0 offset:4 ; 4-byte Folded Spill
	buffer_store_dword v2, off, s[56:59], 0 offset:8 ; 4-byte Folded Spill
	;; [unrolled: 1-line block ×3, first 2 shown]
	v_mul_f64 v[68:69], v[22:23], v[2:3]
	v_fma_f64 v[68:69], v[20:21], v[0:1], v[68:69]
	v_mul_f64 v[20:21], v[20:21], v[2:3]
	v_fma_f64 v[70:71], v[22:23], v[0:1], -v[20:21]
	v_add_co_u32 v20, vcc_lo, v72, s3
	v_add_co_ci_u32_e32 v21, vcc_lo, s2, v73, vcc_lo
	v_add_co_u32 v182, vcc_lo, 0x1000, v12
	v_add_co_ci_u32_e32 v183, vcc_lo, 0, v235, vcc_lo
	s_mov_b32 s2, 0x3259b75e
	s_mov_b32 s3, 0x3fb79ee6
	v_mul_lo_u16 v0, v152, 17
	v_and_b32_e32 v0, 0xffff, v0
	v_lshl_add_u32 v236, v0, 4, v153
	ds_write_b128 v232, v[68:71] offset:4080
	global_load_dwordx4 v[68:71], v[20:21], off
	global_load_dwordx4 v[20:23], v[182:183], off offset:256
	v_lshlrev_b32_e32 v0, 8, v255
	s_waitcnt vmcnt(0)
	v_mul_f64 v[72:73], v[70:71], v[22:23]
	v_fma_f64 v[72:73], v[68:69], v[20:21], v[72:73]
	v_mul_f64 v[68:69], v[68:69], v[22:23]
	v_fma_f64 v[74:75], v[70:71], v[20:21], -v[68:69]
	ds_write_b128 v232, v[72:75] offset:4352
	s_waitcnt lgkmcnt(0)
	s_waitcnt_vscnt null, 0x0
	s_barrier
	buffer_gl0_inv
	ds_read_b128 v[112:115], v232
	ds_read_b128 v[116:119], v232 offset:272
	ds_read_b128 v[120:123], v232 offset:544
	;; [unrolled: 1-line block ×16, first 2 shown]
	s_waitcnt lgkmcnt(0)
	s_barrier
	buffer_gl0_inv
	v_add_f64 v[68:69], v[112:113], v[116:117]
	v_add_f64 v[70:71], v[114:115], v[118:119]
	;; [unrolled: 1-line block ×3, first 2 shown]
	v_add_f64 v[118:119], v[118:119], -v[138:139]
	v_add_f64 v[140:141], v[116:117], v[136:137]
	v_add_f64 v[116:117], v[116:117], -v[136:137]
	v_add_f64 v[68:69], v[68:69], v[120:121]
	v_add_f64 v[70:71], v[70:71], v[122:123]
	v_mul_f64 v[148:149], v[118:119], s[30:31]
	v_mul_f64 v[158:159], v[118:119], s[18:19]
	;; [unrolled: 1-line block ×6, first 2 shown]
	v_add_f64 v[68:69], v[68:69], v[124:125]
	v_add_f64 v[70:71], v[70:71], v[126:127]
	v_mul_f64 v[144:145], v[116:117], s[46:47]
	v_mul_f64 v[154:155], v[116:117], s[30:31]
	;; [unrolled: 1-line block ×8, first 2 shown]
	v_fma_f64 v[150:151], v[140:141], s[28:29], -v[148:149]
	v_fma_f64 v[148:149], v[140:141], s[28:29], v[148:149]
	v_fma_f64 v[160:161], v[140:141], s[14:15], -v[158:159]
	v_fma_f64 v[158:159], v[140:141], s[14:15], v[158:159]
	;; [unrolled: 2-line block ×3, first 2 shown]
	v_add_f64 v[68:69], v[68:69], v[104:105]
	v_add_f64 v[70:71], v[70:71], v[106:107]
	v_fma_f64 v[176:177], v[140:141], s[8:9], -v[174:175]
	v_fma_f64 v[174:175], v[140:141], s[8:9], v[174:175]
	v_fma_f64 v[188:189], v[140:141], s[26:27], -v[186:187]
	v_fma_f64 v[186:187], v[140:141], s[26:27], v[186:187]
	;; [unrolled: 2-line block ×3, first 2 shown]
	v_fma_f64 v[146:147], v[142:143], s[42:43], v[144:145]
	v_fma_f64 v[144:145], v[142:143], s[42:43], -v[144:145]
	v_fma_f64 v[156:157], v[142:143], s[28:29], v[154:155]
	v_fma_f64 v[154:155], v[142:143], s[28:29], -v[154:155]
	;; [unrolled: 2-line block ×4, first 2 shown]
	v_add_f64 v[150:151], v[112:113], v[150:151]
	v_add_f64 v[148:149], v[112:113], v[148:149]
	;; [unrolled: 1-line block ×9, first 2 shown]
	v_fma_f64 v[184:185], v[142:143], s[8:9], v[178:179]
	v_add_f64 v[174:175], v[112:113], v[174:175]
	v_fma_f64 v[178:179], v[142:143], s[8:9], -v[178:179]
	v_add_f64 v[188:189], v[112:113], v[188:189]
	v_fma_f64 v[192:193], v[142:143], s[26:27], v[190:191]
	v_add_f64 v[186:187], v[112:113], v[186:187]
	v_fma_f64 v[190:191], v[142:143], s[26:27], -v[190:191]
	v_add_f64 v[196:197], v[112:113], v[196:197]
	v_fma_f64 v[200:201], v[142:143], s[36:37], v[198:199]
	v_add_f64 v[194:195], v[112:113], v[194:195]
	v_fma_f64 v[198:199], v[142:143], s[36:37], -v[198:199]
	v_fma_f64 v[204:205], v[142:143], s[52:53], v[116:117]
	v_fma_f64 v[116:117], v[142:143], s[52:53], -v[116:117]
	v_add_f64 v[146:147], v[114:115], v[146:147]
	v_add_f64 v[144:145], v[114:115], v[144:145]
	;; [unrolled: 1-line block ×19, first 2 shown]
	v_add_f64 v[120:121], v[120:121], -v[132:133]
	v_add_f64 v[68:69], v[68:69], v[80:81]
	v_add_f64 v[70:71], v[70:71], v[82:83]
	v_add_f64 v[68:69], v[68:69], v[72:73]
	v_add_f64 v[70:71], v[70:71], v[74:75]
	v_add_f64 v[68:69], v[68:69], v[76:77]
	v_add_f64 v[70:71], v[70:71], v[78:79]
	v_add_f64 v[68:69], v[68:69], v[84:85]
	v_add_f64 v[70:71], v[70:71], v[86:87]
	v_add_f64 v[68:69], v[68:69], v[92:93]
	v_add_f64 v[70:71], v[70:71], v[94:95]
	v_add_f64 v[68:69], v[68:69], v[100:101]
	v_add_f64 v[70:71], v[70:71], v[102:103]
	v_add_f64 v[68:69], v[68:69], v[108:109]
	v_add_f64 v[70:71], v[70:71], v[110:111]
	v_add_f64 v[68:69], v[68:69], v[128:129]
	v_add_f64 v[70:71], v[70:71], v[130:131]
	v_add_f64 v[68:69], v[68:69], v[132:133]
	v_add_f64 v[70:71], v[70:71], v[134:135]
	v_add_f64 v[68:69], v[68:69], v[136:137]
	v_mul_f64 v[136:137], v[118:119], s[46:47]
	v_mul_f64 v[118:119], v[118:119], s[50:51]
	v_add_f64 v[70:71], v[70:71], v[138:139]
	v_fma_f64 v[138:139], v[140:141], s[42:43], -v[136:137]
	v_fma_f64 v[136:137], v[140:141], s[42:43], v[136:137]
	v_fma_f64 v[202:203], v[140:141], s[52:53], -v[118:119]
	v_fma_f64 v[118:119], v[140:141], s[52:53], v[118:119]
	v_add_f64 v[138:139], v[112:113], v[138:139]
	v_add_f64 v[136:137], v[112:113], v[136:137]
	;; [unrolled: 1-line block ×5, first 2 shown]
	v_add_f64 v[122:123], v[122:123], -v[134:135]
	v_mul_f64 v[132:133], v[122:123], s[30:31]
	v_fma_f64 v[134:135], v[116:117], s[28:29], -v[132:133]
	v_fma_f64 v[132:133], v[116:117], s[28:29], v[132:133]
	v_add_f64 v[134:135], v[134:135], v[138:139]
	v_mul_f64 v[138:139], v[120:121], s[30:31]
	v_add_f64 v[132:133], v[132:133], v[136:137]
	v_fma_f64 v[140:141], v[118:119], s[28:29], v[138:139]
	v_fma_f64 v[136:137], v[118:119], s[28:29], -v[138:139]
	v_mul_f64 v[138:139], v[122:123], s[4:5]
	v_add_f64 v[140:141], v[140:141], v[146:147]
	v_add_f64 v[136:137], v[136:137], v[144:145]
	v_fma_f64 v[142:143], v[116:117], s[2:3], -v[138:139]
	v_fma_f64 v[138:139], v[116:117], s[2:3], v[138:139]
	v_mul_f64 v[144:145], v[120:121], s[4:5]
	v_add_f64 v[142:143], v[142:143], v[150:151]
	v_add_f64 v[138:139], v[138:139], v[148:149]
	v_mul_f64 v[148:149], v[122:123], s[24:25]
	v_fma_f64 v[146:147], v[118:119], s[2:3], v[144:145]
	v_fma_f64 v[144:145], v[118:119], s[2:3], -v[144:145]
	v_fma_f64 v[150:151], v[116:117], s[26:27], -v[148:149]
	v_fma_f64 v[148:149], v[116:117], s[26:27], v[148:149]
	v_add_f64 v[144:145], v[144:145], v[154:155]
	v_mul_f64 v[154:155], v[120:121], s[24:25]
	v_add_f64 v[146:147], v[146:147], v[156:157]
	v_add_f64 v[150:151], v[150:151], v[160:161]
	v_add_f64 v[148:149], v[148:149], v[158:159]
	v_mul_f64 v[158:159], v[122:123], s[50:51]
	v_fma_f64 v[156:157], v[118:119], s[26:27], v[154:155]
	v_fma_f64 v[154:155], v[118:119], s[26:27], -v[154:155]
	v_fma_f64 v[160:161], v[116:117], s[52:53], -v[158:159]
	v_fma_f64 v[158:159], v[116:117], s[52:53], v[158:159]
	v_add_f64 v[154:155], v[154:155], v[162:163]
	v_mul_f64 v[162:163], v[120:121], s[50:51]
	v_add_f64 v[156:157], v[156:157], v[164:165]
	v_add_f64 v[160:161], v[160:161], v[168:169]
	v_add_f64 v[158:159], v[158:159], v[166:167]
	v_mul_f64 v[166:167], v[122:123], s[44:45]
	v_fma_f64 v[164:165], v[118:119], s[52:53], v[162:163]
	v_fma_f64 v[162:163], v[118:119], s[52:53], -v[162:163]
	v_fma_f64 v[168:169], v[116:117], s[36:37], -v[166:167]
	v_fma_f64 v[166:167], v[116:117], s[36:37], v[166:167]
	v_add_f64 v[162:163], v[162:163], v[170:171]
	v_mul_f64 v[170:171], v[120:121], s[44:45]
	v_add_f64 v[164:165], v[164:165], v[172:173]
	v_add_f64 v[168:169], v[168:169], v[176:177]
	v_add_f64 v[166:167], v[166:167], v[174:175]
	v_mul_f64 v[174:175], v[122:123], s[16:17]
	v_fma_f64 v[172:173], v[118:119], s[36:37], v[170:171]
	v_fma_f64 v[170:171], v[118:119], s[36:37], -v[170:171]
	v_fma_f64 v[176:177], v[116:117], s[8:9], -v[174:175]
	v_fma_f64 v[174:175], v[116:117], s[8:9], v[174:175]
	v_add_f64 v[170:171], v[170:171], v[178:179]
	v_mul_f64 v[178:179], v[120:121], s[16:17]
	v_add_f64 v[172:173], v[172:173], v[184:185]
	v_add_f64 v[176:177], v[176:177], v[188:189]
	v_add_f64 v[174:175], v[174:175], v[186:187]
	v_mul_f64 v[186:187], v[122:123], s[22:23]
	v_fma_f64 v[184:185], v[118:119], s[8:9], v[178:179]
	v_fma_f64 v[178:179], v[118:119], s[8:9], -v[178:179]
	v_mul_f64 v[122:123], v[122:123], s[48:49]
	v_fma_f64 v[188:189], v[116:117], s[14:15], -v[186:187]
	v_fma_f64 v[186:187], v[116:117], s[14:15], v[186:187]
	v_add_f64 v[178:179], v[178:179], v[190:191]
	v_mul_f64 v[190:191], v[120:121], s[22:23]
	v_mul_f64 v[120:121], v[120:121], s[48:49]
	v_add_f64 v[184:185], v[184:185], v[192:193]
	v_add_f64 v[188:189], v[188:189], v[196:197]
	;; [unrolled: 1-line block ×3, first 2 shown]
	v_fma_f64 v[194:195], v[116:117], s[42:43], -v[122:123]
	v_fma_f64 v[116:117], v[116:117], s[42:43], v[122:123]
	v_add_f64 v[122:123], v[126:127], -v[130:131]
	v_fma_f64 v[196:197], v[118:119], s[42:43], v[120:121]
	v_fma_f64 v[192:193], v[118:119], s[14:15], v[190:191]
	v_fma_f64 v[190:191], v[118:119], s[14:15], -v[190:191]
	v_add_f64 v[194:195], v[194:195], v[202:203]
	v_add_f64 v[112:113], v[116:117], v[112:113]
	v_fma_f64 v[116:117], v[118:119], s[42:43], -v[120:121]
	v_add_f64 v[120:121], v[124:125], -v[128:129]
	v_add_f64 v[118:119], v[126:127], v[130:131]
	v_add_f64 v[192:193], v[192:193], v[200:201]
	;; [unrolled: 1-line block ×6, first 2 shown]
	v_mul_f64 v[124:125], v[122:123], s[18:19]
	v_mul_f64 v[128:129], v[120:121], s[18:19]
	v_fma_f64 v[126:127], v[116:117], s[14:15], -v[124:125]
	v_fma_f64 v[124:125], v[116:117], s[14:15], v[124:125]
	v_fma_f64 v[130:131], v[118:119], s[14:15], v[128:129]
	v_fma_f64 v[128:129], v[118:119], s[14:15], -v[128:129]
	v_add_f64 v[126:127], v[126:127], v[134:135]
	v_add_f64 v[124:125], v[124:125], v[132:133]
	v_mul_f64 v[132:133], v[122:123], s[24:25]
	v_add_f64 v[128:129], v[128:129], v[136:137]
	v_mul_f64 v[136:137], v[120:121], s[24:25]
	v_add_f64 v[130:131], v[130:131], v[140:141]
	v_fma_f64 v[134:135], v[116:117], s[26:27], -v[132:133]
	v_fma_f64 v[132:133], v[116:117], s[26:27], v[132:133]
	v_fma_f64 v[140:141], v[118:119], s[26:27], v[136:137]
	v_fma_f64 v[136:137], v[118:119], s[26:27], -v[136:137]
	v_add_f64 v[134:135], v[134:135], v[142:143]
	v_add_f64 v[132:133], v[132:133], v[138:139]
	v_mul_f64 v[138:139], v[122:123], s[54:55]
	v_add_f64 v[136:137], v[136:137], v[144:145]
	v_mul_f64 v[144:145], v[120:121], s[54:55]
	v_add_f64 v[140:141], v[140:141], v[146:147]
	;; [unrolled: 10-line block ×5, first 2 shown]
	v_fma_f64 v[168:169], v[116:117], s[42:43], -v[166:167]
	v_fma_f64 v[166:167], v[116:117], s[42:43], v[166:167]
	v_fma_f64 v[172:173], v[118:119], s[42:43], v[170:171]
	v_fma_f64 v[170:171], v[118:119], s[42:43], -v[170:171]
	v_add_f64 v[168:169], v[168:169], v[176:177]
	v_add_f64 v[166:167], v[166:167], v[174:175]
	v_mul_f64 v[174:175], v[122:123], s[4:5]
	v_mul_f64 v[122:123], v[122:123], s[34:35]
	v_add_f64 v[170:171], v[170:171], v[178:179]
	v_mul_f64 v[178:179], v[120:121], s[4:5]
	v_mul_f64 v[120:121], v[120:121], s[34:35]
	v_add_f64 v[172:173], v[172:173], v[184:185]
	v_fma_f64 v[176:177], v[116:117], s[2:3], -v[174:175]
	v_fma_f64 v[174:175], v[116:117], s[2:3], v[174:175]
	v_fma_f64 v[184:185], v[118:119], s[2:3], v[178:179]
	v_fma_f64 v[178:179], v[118:119], s[2:3], -v[178:179]
	v_add_f64 v[176:177], v[176:177], v[188:189]
	v_add_f64 v[174:175], v[174:175], v[186:187]
	v_fma_f64 v[186:187], v[116:117], s[36:37], -v[122:123]
	v_fma_f64 v[116:117], v[116:117], s[36:37], v[122:123]
	v_fma_f64 v[188:189], v[118:119], s[36:37], v[120:121]
	v_add_f64 v[184:185], v[184:185], v[192:193]
	v_add_f64 v[178:179], v[178:179], v[190:191]
	;; [unrolled: 1-line block ×4, first 2 shown]
	v_fma_f64 v[116:117], v[118:119], s[36:37], -v[120:121]
	v_add_f64 v[118:119], v[106:107], v[110:111]
	v_add_f64 v[106:107], v[106:107], -v[110:111]
	v_add_f64 v[188:189], v[188:189], v[196:197]
	v_add_f64 v[114:115], v[116:117], v[114:115]
	;; [unrolled: 1-line block ×3, first 2 shown]
	v_add_f64 v[104:105], v[104:105], -v[108:109]
	v_mul_f64 v[108:109], v[106:107], s[4:5]
	v_mul_f64 v[120:121], v[104:105], s[4:5]
	v_fma_f64 v[110:111], v[116:117], s[2:3], -v[108:109]
	v_fma_f64 v[108:109], v[116:117], s[2:3], v[108:109]
	v_fma_f64 v[122:123], v[118:119], s[2:3], v[120:121]
	v_fma_f64 v[120:121], v[118:119], s[2:3], -v[120:121]
	v_add_f64 v[108:109], v[108:109], v[124:125]
	v_mul_f64 v[124:125], v[106:107], s[50:51]
	v_add_f64 v[110:111], v[110:111], v[126:127]
	v_add_f64 v[122:123], v[122:123], v[130:131]
	v_add_f64 v[120:121], v[120:121], v[128:129]
	v_mul_f64 v[128:129], v[104:105], s[50:51]
	v_fma_f64 v[126:127], v[116:117], s[52:53], -v[124:125]
	v_fma_f64 v[124:125], v[116:117], s[52:53], v[124:125]
	v_fma_f64 v[130:131], v[118:119], s[52:53], v[128:129]
	v_fma_f64 v[128:129], v[118:119], s[52:53], -v[128:129]
	v_add_f64 v[124:125], v[124:125], v[132:133]
	v_mul_f64 v[132:133], v[106:107], s[16:17]
	v_add_f64 v[126:127], v[126:127], v[134:135]
	v_add_f64 v[130:131], v[130:131], v[140:141]
	v_add_f64 v[128:129], v[128:129], v[136:137]
	;; [unrolled: 10-line block ×5, first 2 shown]
	v_mul_f64 v[162:163], v[104:105], s[34:35]
	v_fma_f64 v[160:161], v[116:117], s[36:37], -v[158:159]
	v_fma_f64 v[158:159], v[116:117], s[36:37], v[158:159]
	v_fma_f64 v[164:165], v[118:119], s[36:37], v[162:163]
	v_fma_f64 v[162:163], v[118:119], s[36:37], -v[162:163]
	v_add_f64 v[158:159], v[158:159], v[166:167]
	v_mul_f64 v[166:167], v[106:107], s[40:41]
	v_add_f64 v[160:161], v[160:161], v[168:169]
	v_mul_f64 v[106:107], v[106:107], s[38:39]
	v_add_f64 v[164:165], v[164:165], v[172:173]
	v_add_f64 v[162:163], v[162:163], v[170:171]
	v_mul_f64 v[170:171], v[104:105], s[40:41]
	v_fma_f64 v[168:169], v[116:117], s[26:27], -v[166:167]
	v_mul_f64 v[104:105], v[104:105], s[38:39]
	v_fma_f64 v[166:167], v[116:117], s[26:27], v[166:167]
	v_fma_f64 v[172:173], v[118:119], s[26:27], v[170:171]
	v_add_f64 v[168:169], v[168:169], v[176:177]
	v_fma_f64 v[176:177], v[118:119], s[28:29], v[104:105]
	v_fma_f64 v[104:105], v[118:119], s[28:29], -v[104:105]
	v_add_f64 v[166:167], v[166:167], v[174:175]
	v_fma_f64 v[174:175], v[116:117], s[28:29], -v[106:107]
	v_fma_f64 v[106:107], v[116:117], s[28:29], v[106:107]
	v_fma_f64 v[170:171], v[118:119], s[26:27], -v[170:171]
	v_add_f64 v[172:173], v[172:173], v[184:185]
	v_add_f64 v[184:185], v[82:83], -v[86:87]
	v_add_f64 v[176:177], v[176:177], v[188:189]
	v_add_f64 v[104:105], v[104:105], v[114:115]
	;; [unrolled: 1-line block ×3, first 2 shown]
	v_add_f64 v[98:99], v[98:99], -v[102:103]
	v_add_f64 v[106:107], v[106:107], v[112:113]
	v_add_f64 v[112:113], v[96:97], v[100:101]
	v_add_f64 v[96:97], v[96:97], -v[100:101]
	v_add_f64 v[174:175], v[174:175], v[186:187]
	v_add_f64 v[170:171], v[170:171], v[178:179]
	v_add_f64 v[178:179], v[80:81], -v[84:85]
	v_mul_f64 v[100:101], v[98:99], s[6:7]
	v_fma_f64 v[102:103], v[112:113], s[8:9], -v[100:101]
	v_fma_f64 v[100:101], v[112:113], s[8:9], v[100:101]
	v_add_f64 v[102:103], v[102:103], v[110:111]
	v_mul_f64 v[110:111], v[96:97], s[6:7]
	v_add_f64 v[100:101], v[100:101], v[108:109]
	v_fma_f64 v[116:117], v[114:115], s[8:9], v[110:111]
	v_fma_f64 v[108:109], v[114:115], s[8:9], -v[110:111]
	v_mul_f64 v[110:111], v[98:99], s[44:45]
	v_add_f64 v[116:117], v[116:117], v[122:123]
	v_add_f64 v[108:109], v[108:109], v[120:121]
	v_fma_f64 v[118:119], v[112:113], s[36:37], -v[110:111]
	v_fma_f64 v[110:111], v[112:113], s[36:37], v[110:111]
	v_mul_f64 v[120:121], v[96:97], s[44:45]
	v_add_f64 v[118:119], v[118:119], v[126:127]
	v_add_f64 v[110:111], v[110:111], v[124:125]
	v_mul_f64 v[124:125], v[98:99], s[38:39]
	v_fma_f64 v[122:123], v[114:115], s[36:37], v[120:121]
	v_fma_f64 v[120:121], v[114:115], s[36:37], -v[120:121]
	v_fma_f64 v[126:127], v[112:113], s[28:29], -v[124:125]
	v_fma_f64 v[124:125], v[112:113], s[28:29], v[124:125]
	v_add_f64 v[120:121], v[120:121], v[128:129]
	v_mul_f64 v[128:129], v[96:97], s[38:39]
	v_add_f64 v[122:123], v[122:123], v[130:131]
	v_add_f64 v[126:127], v[126:127], v[134:135]
	v_add_f64 v[124:125], v[124:125], v[132:133]
	v_mul_f64 v[132:133], v[98:99], s[18:19]
	v_fma_f64 v[130:131], v[114:115], s[28:29], v[128:129]
	v_fma_f64 v[128:129], v[114:115], s[28:29], -v[128:129]
	v_fma_f64 v[134:135], v[112:113], s[14:15], -v[132:133]
	v_fma_f64 v[132:133], v[112:113], s[14:15], v[132:133]
	v_add_f64 v[128:129], v[128:129], v[136:137]
	v_mul_f64 v[136:137], v[96:97], s[18:19]
	v_add_f64 v[130:131], v[130:131], v[140:141]
	;; [unrolled: 10-line block ×4, first 2 shown]
	v_add_f64 v[150:151], v[150:151], v[160:161]
	v_add_f64 v[148:149], v[148:149], v[158:159]
	v_mul_f64 v[158:159], v[98:99], s[46:47]
	v_fma_f64 v[156:157], v[114:115], s[2:3], v[154:155]
	v_fma_f64 v[154:155], v[114:115], s[2:3], -v[154:155]
	v_mul_f64 v[98:99], v[98:99], s[24:25]
	v_fma_f64 v[160:161], v[112:113], s[42:43], -v[158:159]
	v_fma_f64 v[158:159], v[112:113], s[42:43], v[158:159]
	v_add_f64 v[154:155], v[154:155], v[162:163]
	v_mul_f64 v[162:163], v[96:97], s[46:47]
	v_mul_f64 v[96:97], v[96:97], s[24:25]
	v_add_f64 v[156:157], v[156:157], v[164:165]
	v_add_f64 v[160:161], v[160:161], v[168:169]
	;; [unrolled: 1-line block ×3, first 2 shown]
	v_fma_f64 v[166:167], v[112:113], s[26:27], -v[98:99]
	v_fma_f64 v[98:99], v[112:113], s[26:27], v[98:99]
	v_fma_f64 v[168:169], v[114:115], s[26:27], v[96:97]
	v_fma_f64 v[96:97], v[114:115], s[26:27], -v[96:97]
	v_fma_f64 v[164:165], v[114:115], s[42:43], v[162:163]
	v_fma_f64 v[162:163], v[114:115], s[42:43], -v[162:163]
	v_add_f64 v[166:167], v[166:167], v[174:175]
	v_add_f64 v[98:99], v[98:99], v[106:107]
	;; [unrolled: 1-line block ×3, first 2 shown]
	v_add_f64 v[90:91], v[90:91], -v[94:95]
	v_add_f64 v[96:97], v[96:97], v[104:105]
	v_add_f64 v[104:105], v[88:89], v[92:93]
	v_add_f64 v[88:89], v[88:89], -v[92:93]
	v_add_f64 v[174:175], v[80:81], v[84:85]
	v_mul_f64 v[80:81], v[184:185], s[34:35]
	v_add_f64 v[162:163], v[162:163], v[170:171]
	v_add_f64 v[168:169], v[168:169], v[176:177]
	;; [unrolled: 1-line block ×4, first 2 shown]
	v_mul_f64 v[92:93], v[90:91], s[24:25]
	v_mul_f64 v[114:115], v[88:89], s[16:17]
	v_fma_f64 v[82:83], v[174:175], s[36:37], -v[80:81]
	v_fma_f64 v[80:81], v[174:175], s[36:37], v[80:81]
	v_fma_f64 v[94:95], v[104:105], s[26:27], -v[92:93]
	v_fma_f64 v[92:93], v[104:105], s[26:27], v[92:93]
	v_add_f64 v[94:95], v[94:95], v[102:103]
	v_mul_f64 v[102:103], v[88:89], s[24:25]
	v_add_f64 v[92:93], v[92:93], v[100:101]
	v_fma_f64 v[112:113], v[106:107], s[26:27], v[102:103]
	v_fma_f64 v[100:101], v[106:107], s[26:27], -v[102:103]
	v_mul_f64 v[102:103], v[90:91], s[16:17]
	v_add_f64 v[112:113], v[112:113], v[116:117]
	v_add_f64 v[100:101], v[100:101], v[108:109]
	v_fma_f64 v[108:109], v[104:105], s[8:9], -v[102:103]
	v_fma_f64 v[102:103], v[104:105], s[8:9], v[102:103]
	v_fma_f64 v[116:117], v[106:107], s[8:9], v[114:115]
	v_add_f64 v[108:109], v[108:109], v[118:119]
	v_add_f64 v[102:103], v[102:103], v[110:111]
	v_fma_f64 v[110:111], v[106:107], s[8:9], -v[114:115]
	v_add_f64 v[116:117], v[116:117], v[122:123]
	v_mul_f64 v[114:115], v[90:91], s[46:47]
	v_add_f64 v[110:111], v[110:111], v[120:121]
	v_mul_f64 v[120:121], v[88:89], s[46:47]
	v_fma_f64 v[118:119], v[104:105], s[42:43], -v[114:115]
	v_fma_f64 v[114:115], v[104:105], s[42:43], v[114:115]
	v_fma_f64 v[122:123], v[106:107], s[42:43], v[120:121]
	v_fma_f64 v[120:121], v[106:107], s[42:43], -v[120:121]
	v_add_f64 v[114:115], v[114:115], v[124:125]
	v_mul_f64 v[124:125], v[90:91], s[34:35]
	v_add_f64 v[118:119], v[118:119], v[126:127]
	v_add_f64 v[122:123], v[122:123], v[130:131]
	;; [unrolled: 1-line block ×3, first 2 shown]
	v_mul_f64 v[128:129], v[88:89], s[34:35]
	v_fma_f64 v[126:127], v[104:105], s[36:37], -v[124:125]
	v_fma_f64 v[124:125], v[104:105], s[36:37], v[124:125]
	v_fma_f64 v[130:131], v[106:107], s[36:37], v[128:129]
	v_fma_f64 v[128:129], v[106:107], s[36:37], -v[128:129]
	v_add_f64 v[124:125], v[124:125], v[132:133]
	v_mul_f64 v[132:133], v[90:91], s[20:21]
	v_add_f64 v[126:127], v[126:127], v[134:135]
	v_add_f64 v[130:131], v[130:131], v[140:141]
	;; [unrolled: 1-line block ×3, first 2 shown]
	v_mul_f64 v[136:137], v[88:89], s[20:21]
	v_fma_f64 v[134:135], v[104:105], s[2:3], -v[132:133]
	v_fma_f64 v[132:133], v[104:105], s[2:3], v[132:133]
	v_fma_f64 v[140:141], v[106:107], s[2:3], v[136:137]
	v_fma_f64 v[136:137], v[106:107], s[2:3], -v[136:137]
	v_add_f64 v[132:133], v[132:133], v[138:139]
	v_add_f64 v[134:135], v[134:135], v[142:143]
	v_add_f64 v[142:143], v[82:83], v[94:95]
	v_mul_f64 v[82:83], v[178:179], s[34:35]
	v_mul_f64 v[94:95], v[178:179], s[4:5]
	v_add_f64 v[146:147], v[140:141], v[146:147]
	v_add_f64 v[144:145], v[136:137], v[144:145]
	v_mul_f64 v[136:137], v[90:91], s[30:31]
	v_fma_f64 v[84:85], v[176:177], s[36:37], v[82:83]
	v_fma_f64 v[138:139], v[104:105], s[28:29], -v[136:137]
	v_fma_f64 v[136:137], v[104:105], s[28:29], v[136:137]
	v_add_f64 v[150:151], v[138:139], v[150:151]
	v_mul_f64 v[138:139], v[88:89], s[30:31]
	v_add_f64 v[148:149], v[136:137], v[148:149]
	v_fma_f64 v[136:137], v[106:107], s[28:29], -v[138:139]
	v_fma_f64 v[140:141], v[106:107], s[28:29], v[138:139]
	v_add_f64 v[154:155], v[136:137], v[154:155]
	v_mul_f64 v[136:137], v[90:91], s[50:51]
	v_mul_f64 v[90:91], v[90:91], s[22:23]
	v_add_f64 v[156:157], v[140:141], v[156:157]
	v_fma_f64 v[138:139], v[104:105], s[52:53], -v[136:137]
	v_fma_f64 v[136:137], v[104:105], s[52:53], v[136:137]
	v_add_f64 v[160:161], v[138:139], v[160:161]
	v_mul_f64 v[138:139], v[88:89], s[50:51]
	v_add_f64 v[158:159], v[136:137], v[158:159]
	v_mul_f64 v[88:89], v[88:89], s[22:23]
	v_fma_f64 v[136:137], v[106:107], s[52:53], -v[138:139]
	v_fma_f64 v[140:141], v[106:107], s[52:53], v[138:139]
	v_add_f64 v[138:139], v[80:81], v[92:93]
	v_fma_f64 v[80:81], v[176:177], s[36:37], -v[82:83]
	v_mul_f64 v[92:93], v[184:185], s[4:5]
	v_add_f64 v[162:163], v[136:137], v[162:163]
	v_fma_f64 v[136:137], v[104:105], s[14:15], -v[90:91]
	v_add_f64 v[164:165], v[140:141], v[164:165]
	v_add_f64 v[140:141], v[84:85], v[112:113]
	v_mul_f64 v[112:113], v[184:185], s[50:51]
	v_fma_f64 v[90:91], v[104:105], s[14:15], v[90:91]
	v_add_f64 v[166:167], v[136:137], v[166:167]
	v_fma_f64 v[136:137], v[106:107], s[14:15], v[88:89]
	v_fma_f64 v[88:89], v[106:107], s[14:15], -v[88:89]
	v_add_f64 v[170:171], v[90:91], v[98:99]
	v_fma_f64 v[90:91], v[176:177], s[2:3], v[94:95]
	v_fma_f64 v[94:95], v[176:177], s[2:3], -v[94:95]
	v_add_f64 v[168:169], v[136:137], v[168:169]
	v_add_f64 v[136:137], v[80:81], v[100:101]
	v_mul_f64 v[80:81], v[184:185], s[22:23]
	v_add_f64 v[172:173], v[88:89], v[96:97]
	v_fma_f64 v[88:89], v[174:175], s[2:3], -v[92:93]
	v_fma_f64 v[92:93], v[174:175], s[2:3], v[92:93]
	v_mul_f64 v[100:101], v[184:185], s[40:41]
	v_add_f64 v[90:91], v[90:91], v[122:123]
	v_add_f64 v[94:95], v[94:95], v[120:121]
	v_fma_f64 v[82:83], v[174:175], s[14:15], -v[80:81]
	v_fma_f64 v[80:81], v[174:175], s[14:15], v[80:81]
	v_add_f64 v[88:89], v[88:89], v[118:119]
	v_add_f64 v[92:93], v[92:93], v[114:115]
	v_fma_f64 v[114:115], v[174:175], s[52:53], -v[112:113]
	v_fma_f64 v[112:113], v[174:175], s[52:53], v[112:113]
	v_fma_f64 v[96:97], v[174:175], s[26:27], -v[100:101]
	v_fma_f64 v[100:101], v[174:175], s[26:27], v[100:101]
	v_add_f64 v[84:85], v[82:83], v[108:109]
	v_mul_f64 v[108:109], v[184:185], s[46:47]
	v_add_f64 v[80:81], v[80:81], v[102:103]
	v_mul_f64 v[102:103], v[178:179], s[40:41]
	v_mul_f64 v[82:83], v[178:179], s[22:23]
	v_add_f64 v[96:97], v[96:97], v[126:127]
	v_add_f64 v[100:101], v[100:101], v[124:125]
	v_fma_f64 v[104:105], v[174:175], s[42:43], -v[108:109]
	v_fma_f64 v[108:109], v[174:175], s[42:43], v[108:109]
	v_fma_f64 v[98:99], v[176:177], s[26:27], v[102:103]
	v_fma_f64 v[102:103], v[176:177], s[26:27], -v[102:103]
	v_fma_f64 v[86:87], v[176:177], s[14:15], v[82:83]
	v_fma_f64 v[82:83], v[176:177], s[14:15], -v[82:83]
	v_add_f64 v[104:105], v[104:105], v[134:135]
	v_add_f64 v[134:135], v[114:115], v[150:151]
	v_mul_f64 v[114:115], v[178:179], s[50:51]
	v_add_f64 v[98:99], v[98:99], v[130:131]
	v_add_f64 v[130:131], v[112:113], v[148:149]
	v_add_f64 v[102:103], v[102:103], v[128:129]
	v_add_f64 v[86:87], v[86:87], v[116:117]
	v_add_f64 v[82:83], v[82:83], v[110:111]
	v_mul_f64 v[110:111], v[178:179], s[46:47]
	v_add_f64 v[108:109], v[108:109], v[132:133]
	v_add_f64 v[150:151], v[74:75], -v[78:79]
	v_add_f64 v[148:149], v[72:73], -v[76:77]
	v_fma_f64 v[112:113], v[176:177], s[52:53], -v[114:115]
	v_fma_f64 v[116:117], v[176:177], s[52:53], v[114:115]
	v_fma_f64 v[106:107], v[176:177], s[42:43], v[110:111]
	v_fma_f64 v[110:111], v[176:177], s[42:43], -v[110:111]
	v_add_f64 v[128:129], v[112:113], v[154:155]
	v_mul_f64 v[112:113], v[184:185], s[38:39]
	v_add_f64 v[132:133], v[116:117], v[156:157]
	v_add_f64 v[106:107], v[106:107], v[146:147]
	;; [unrolled: 1-line block ×3, first 2 shown]
	v_mul_f64 v[144:145], v[178:179], s[6:7]
	v_add_f64 v[146:147], v[72:73], v[76:77]
	v_mul_f64 v[72:73], v[150:151], s[50:51]
	v_fma_f64 v[114:115], v[174:175], s[28:29], -v[112:113]
	v_fma_f64 v[112:113], v[174:175], s[28:29], v[112:113]
	v_add_f64 v[126:127], v[114:115], v[160:161]
	v_mul_f64 v[114:115], v[178:179], s[38:39]
	v_add_f64 v[122:123], v[112:113], v[158:159]
	v_fma_f64 v[112:113], v[176:177], s[28:29], -v[114:115]
	v_fma_f64 v[116:117], v[176:177], s[28:29], v[114:115]
	v_add_f64 v[120:121], v[112:113], v[162:163]
	v_mul_f64 v[112:113], v[184:185], s[6:7]
	v_add_f64 v[124:125], v[116:117], v[164:165]
	v_fma_f64 v[114:115], v[174:175], s[8:9], -v[112:113]
	v_fma_f64 v[112:113], v[174:175], s[8:9], v[112:113]
	v_add_f64 v[118:119], v[114:115], v[166:167]
	v_fma_f64 v[114:115], v[176:177], s[8:9], v[144:145]
	v_add_f64 v[116:117], v[114:115], v[168:169]
	v_add_f64 v[114:115], v[112:113], v[170:171]
	v_fma_f64 v[112:113], v[176:177], s[8:9], -v[144:145]
	v_add_f64 v[144:145], v[74:75], v[78:79]
	v_fma_f64 v[74:75], v[146:147], s[52:53], -v[72:73]
	v_fma_f64 v[72:73], v[146:147], s[52:53], v[72:73]
	v_add_f64 v[112:113], v[112:113], v[172:173]
	v_add_f64 v[76:77], v[74:75], v[142:143]
	v_mul_f64 v[74:75], v[148:149], s[50:51]
	v_add_f64 v[72:73], v[72:73], v[138:139]
	v_fma_f64 v[78:79], v[144:145], s[52:53], v[74:75]
	v_fma_f64 v[74:75], v[144:145], s[52:53], -v[74:75]
	v_add_f64 v[78:79], v[78:79], v[140:141]
	v_add_f64 v[74:75], v[74:75], v[136:137]
	v_mul_f64 v[136:137], v[150:151], s[48:49]
	v_fma_f64 v[138:139], v[146:147], s[42:43], -v[136:137]
	v_fma_f64 v[136:137], v[146:147], s[42:43], v[136:137]
	v_add_f64 v[84:85], v[138:139], v[84:85]
	v_mul_f64 v[138:139], v[148:149], s[48:49]
	v_add_f64 v[80:81], v[136:137], v[80:81]
	v_fma_f64 v[136:137], v[144:145], s[42:43], -v[138:139]
	v_fma_f64 v[140:141], v[144:145], s[42:43], v[138:139]
	v_add_f64 v[82:83], v[136:137], v[82:83]
	v_mul_f64 v[136:137], v[150:151], s[34:35]
	v_add_f64 v[86:87], v[140:141], v[86:87]
	;; [unrolled: 5-line block ×7, first 2 shown]
	v_fma_f64 v[140:141], v[144:145], s[26:27], v[138:139]
	v_fma_f64 v[136:137], v[144:145], s[26:27], -v[138:139]
	v_mul_f64 v[138:139], v[150:151], s[22:23]
	v_add_f64 v[106:107], v[140:141], v[106:107]
	v_add_f64 v[110:111], v[136:137], v[110:111]
	v_fma_f64 v[136:137], v[146:147], s[14:15], -v[138:139]
	v_mul_f64 v[140:141], v[148:149], s[22:23]
	v_add_f64 v[134:135], v[136:137], v[134:135]
	v_fma_f64 v[136:137], v[144:145], s[14:15], v[140:141]
	v_add_f64 v[136:137], v[136:137], v[132:133]
	v_fma_f64 v[132:133], v[146:147], s[14:15], v[138:139]
	v_mul_f64 v[138:139], v[150:151], s[6:7]
	v_add_f64 v[130:131], v[132:133], v[130:131]
	v_fma_f64 v[132:133], v[144:145], s[14:15], -v[140:141]
	v_mul_f64 v[140:141], v[148:149], s[6:7]
	v_add_f64 v[132:133], v[132:133], v[128:129]
	v_fma_f64 v[128:129], v[146:147], s[8:9], -v[138:139]
	v_add_f64 v[126:127], v[128:129], v[126:127]
	v_fma_f64 v[128:129], v[144:145], s[8:9], v[140:141]
	v_add_f64 v[128:129], v[128:129], v[124:125]
	v_fma_f64 v[124:125], v[146:147], s[8:9], v[138:139]
	v_mul_f64 v[138:139], v[150:151], s[20:21]
	v_add_f64 v[122:123], v[124:125], v[122:123]
	v_fma_f64 v[124:125], v[144:145], s[8:9], -v[140:141]
	v_mul_f64 v[140:141], v[148:149], s[20:21]
	v_add_f64 v[124:125], v[124:125], v[120:121]
	v_fma_f64 v[120:121], v[146:147], s[2:3], -v[138:139]
	v_add_f64 v[118:119], v[120:121], v[118:119]
	v_fma_f64 v[120:121], v[144:145], s[2:3], v[140:141]
	v_add_f64 v[120:121], v[120:121], v[116:117]
	v_fma_f64 v[116:117], v[146:147], s[2:3], v[138:139]
	v_add_f64 v[114:115], v[116:117], v[114:115]
	v_fma_f64 v[116:117], v[144:145], s[2:3], -v[140:141]
	v_add_f64 v[116:117], v[116:117], v[112:113]
	ds_write_b128 v236, v[68:71]
	ds_write_b128 v236, v[76:79] offset:16
	ds_write_b128 v236, v[84:87] offset:32
	;; [unrolled: 1-line block ×16, first 2 shown]
	s_waitcnt lgkmcnt(0)
	s_barrier
	buffer_gl0_inv
	ds_read_b128 v[136:139], v232
	ds_read_b128 v[80:83], v232 offset:272
	ds_read_b128 v[84:87], v232 offset:544
	;; [unrolled: 1-line block ×16, first 2 shown]
	s_clause 0x3
	global_load_dwordx4 v[68:71], v0, s[10:11] offset:48
	global_load_dwordx4 v[72:75], v0, s[10:11] offset:32
	global_load_dwordx4 v[76:79], v0, s[10:11] offset:16
	global_load_dwordx4 v[96:99], v0, s[10:11]
	s_waitcnt vmcnt(0) lgkmcnt(15)
	v_mul_f64 v[104:105], v[82:83], v[98:99]
	v_fma_f64 v[212:213], v[80:81], v[96:97], -v[104:105]
	v_mul_f64 v[80:81], v[80:81], v[98:99]
	v_fma_f64 v[202:203], v[82:83], v[96:97], v[80:81]
	s_waitcnt lgkmcnt(14)
	v_mul_f64 v[80:81], v[86:87], v[78:79]
	v_fma_f64 v[200:201], v[84:85], v[76:77], -v[80:81]
	v_mul_f64 v[80:81], v[84:85], v[78:79]
	v_fma_f64 v[198:199], v[86:87], v[76:77], v[80:81]
	s_waitcnt lgkmcnt(13)
	v_mul_f64 v[80:81], v[90:91], v[74:75]
	v_fma_f64 v[196:197], v[88:89], v[72:73], -v[80:81]
	v_mul_f64 v[80:81], v[88:89], v[74:75]
	v_fma_f64 v[192:193], v[90:91], v[72:73], v[80:81]
	s_waitcnt lgkmcnt(12)
	v_mul_f64 v[80:81], v[94:95], v[70:71]
	v_fma_f64 v[190:191], v[92:93], v[68:69], -v[80:81]
	v_mul_f64 v[80:81], v[92:93], v[70:71]
	v_fma_f64 v[188:189], v[94:95], v[68:69], v[80:81]
	s_clause 0x3
	global_load_dwordx4 v[80:83], v0, s[10:11] offset:112
	global_load_dwordx4 v[84:87], v0, s[10:11] offset:96
	global_load_dwordx4 v[88:91], v0, s[10:11] offset:80
	global_load_dwordx4 v[104:107], v0, s[10:11] offset:64
	s_waitcnt vmcnt(0) lgkmcnt(11)
	v_mul_f64 v[92:93], v[102:103], v[106:107]
	v_fma_f64 v[184:185], v[100:101], v[104:105], -v[92:93]
	v_mul_f64 v[92:93], v[100:101], v[106:107]
	v_fma_f64 v[176:177], v[102:103], v[104:105], v[92:93]
	s_waitcnt lgkmcnt(10)
	v_mul_f64 v[92:93], v[110:111], v[90:91]
	v_fma_f64 v[172:173], v[108:109], v[88:89], -v[92:93]
	v_mul_f64 v[92:93], v[108:109], v[90:91]
	v_fma_f64 v[168:169], v[110:111], v[88:89], v[92:93]
	s_waitcnt lgkmcnt(9)
	v_mul_f64 v[92:93], v[114:115], v[86:87]
	v_fma_f64 v[164:165], v[112:113], v[84:85], -v[92:93]
	v_mul_f64 v[92:93], v[112:113], v[86:87]
	v_fma_f64 v[160:161], v[114:115], v[84:85], v[92:93]
	s_waitcnt lgkmcnt(8)
	v_mul_f64 v[92:93], v[118:119], v[82:83]
	v_fma_f64 v[156:157], v[116:117], v[80:81], -v[92:93]
	v_mul_f64 v[92:93], v[116:117], v[82:83]
	v_fma_f64 v[152:153], v[118:119], v[80:81], v[92:93]
	s_clause 0x3
	global_load_dwordx4 v[92:95], v0, s[10:11] offset:176
	global_load_dwordx4 v[100:103], v0, s[10:11] offset:160
	global_load_dwordx4 v[108:111], v0, s[10:11] offset:144
	global_load_dwordx4 v[120:123], v0, s[10:11] offset:128
	;; [unrolled: 25-line block ×3, first 2 shown]
	s_waitcnt vmcnt(0) lgkmcnt(3)
	v_mul_f64 v[194:195], v[150:151], v[130:131]
	v_fma_f64 v[194:195], v[148:149], v[128:129], -v[194:195]
	v_mul_f64 v[148:149], v[148:149], v[130:131]
	v_fma_f64 v[148:149], v[150:151], v[128:129], v[148:149]
	s_waitcnt lgkmcnt(2)
	v_mul_f64 v[150:151], v[146:147], v[126:127]
	v_fma_f64 v[150:151], v[144:145], v[124:125], -v[150:151]
	v_mul_f64 v[144:145], v[144:145], v[126:127]
	v_fma_f64 v[144:145], v[146:147], v[124:125], v[144:145]
	s_waitcnt lgkmcnt(1)
	;; [unrolled: 5-line block ×3, first 2 shown]
	v_mul_f64 v[142:143], v[134:135], v[114:115]
	v_fma_f64 v[204:205], v[132:133], v[112:113], -v[142:143]
	v_mul_f64 v[132:133], v[132:133], v[114:115]
	v_add_f64 v[218:219], v[212:213], v[204:205]
	v_fma_f64 v[206:207], v[134:135], v[112:113], v[132:133]
	v_add_f64 v[132:133], v[136:137], v[212:213]
	v_add_f64 v[134:135], v[138:139], v[202:203]
	v_add_f64 v[220:221], v[212:213], -v[204:205]
	v_add_f64 v[222:223], v[202:203], -v[206:207]
	v_add_f64 v[132:133], v[132:133], v[200:201]
	v_add_f64 v[134:135], v[134:135], v[198:199]
	;; [unrolled: 1-line block ×3, first 2 shown]
	v_mul_f64 v[216:217], v[220:221], s[30:31]
	v_mul_f64 v[228:229], v[220:221], s[18:19]
	;; [unrolled: 1-line block ×8, first 2 shown]
	v_add_f64 v[132:133], v[132:133], v[196:197]
	v_add_f64 v[134:135], v[134:135], v[192:193]
	v_mul_f64 v[224:225], v[222:223], s[18:19]
	v_fma_f64 v[212:213], v[142:143], s[28:29], v[216:217]
	v_fma_f64 v[216:217], v[142:143], s[28:29], -v[216:217]
	v_fma_f64 v[230:231], v[142:143], s[14:15], v[228:229]
	v_fma_f64 v[228:229], v[142:143], s[14:15], -v[228:229]
	;; [unrolled: 2-line block ×6, first 2 shown]
	v_mul_f64 v[237:238], v[222:223], s[4:5]
	v_mul_f64 v[245:246], v[222:223], s[6:7]
	;; [unrolled: 1-line block ×4, first 2 shown]
	v_fma_f64 v[210:211], v[218:219], s[28:29], -v[214:215]
	v_add_f64 v[132:133], v[132:133], v[190:191]
	v_add_f64 v[134:135], v[134:135], v[188:189]
	v_fma_f64 v[214:215], v[218:219], s[28:29], v[214:215]
	v_add_f64 v[212:213], v[138:139], v[212:213]
	v_add_f64 v[216:217], v[138:139], v[216:217]
	;; [unrolled: 1-line block ×12, first 2 shown]
	v_fma_f64 v[226:227], v[218:219], s[14:15], -v[224:225]
	v_fma_f64 v[224:225], v[218:219], s[14:15], v[224:225]
	v_fma_f64 v[239:240], v[218:219], s[2:3], -v[237:238]
	v_fma_f64 v[237:238], v[218:219], s[2:3], v[237:238]
	;; [unrolled: 2-line block ×3, first 2 shown]
	v_fma_f64 v[180:181], v[218:219], s[26:27], -v[253:254]
	v_add_f64 v[132:133], v[132:133], v[184:185]
	v_add_f64 v[134:135], v[134:135], v[176:177]
	v_fma_f64 v[253:254], v[218:219], s[26:27], v[253:254]
	v_fma_f64 v[8:9], v[218:219], s[36:37], -v[233:234]
	v_fma_f64 v[233:234], v[218:219], s[36:37], v[233:234]
	v_add_f64 v[210:211], v[136:137], v[210:211]
	v_add_f64 v[214:215], v[136:137], v[214:215]
	;; [unrolled: 1-line block ×33, first 2 shown]
	v_mul_f64 v[204:205], v[222:223], s[46:47]
	v_add_f64 v[134:135], v[134:135], v[206:207]
	v_mul_f64 v[206:207], v[220:221], s[46:47]
	v_fma_f64 v[220:221], v[142:143], s[52:53], v[6:7]
	v_fma_f64 v[6:7], v[142:143], s[52:53], -v[6:7]
	v_mul_f64 v[222:223], v[222:223], s[50:51]
	v_fma_f64 v[202:203], v[218:219], s[42:43], -v[204:205]
	v_fma_f64 v[204:205], v[218:219], s[42:43], v[204:205]
	v_add_f64 v[220:221], v[138:139], v[220:221]
	v_add_f64 v[6:7], v[138:139], v[6:7]
	v_fma_f64 v[4:5], v[218:219], s[52:53], -v[222:223]
	v_fma_f64 v[218:219], v[218:219], s[52:53], v[222:223]
	v_add_f64 v[208:209], v[136:137], v[202:203]
	v_fma_f64 v[202:203], v[142:143], s[42:43], v[206:207]
	v_fma_f64 v[206:207], v[142:143], s[42:43], -v[206:207]
	v_add_f64 v[142:143], v[198:199], v[140:141]
	v_add_f64 v[140:141], v[198:199], -v[140:141]
	v_add_f64 v[204:205], v[136:137], v[204:205]
	v_add_f64 v[4:5], v[136:137], v[4:5]
	;; [unrolled: 1-line block ×6, first 2 shown]
	v_mul_f64 v[198:199], v[140:141], s[30:31]
	v_add_f64 v[146:147], v[200:201], -v[146:147]
	v_fma_f64 v[200:201], v[138:139], s[28:29], -v[198:199]
	v_fma_f64 v[198:199], v[138:139], s[28:29], v[198:199]
	v_add_f64 v[200:201], v[200:201], v[208:209]
	v_mul_f64 v[208:209], v[146:147], s[30:31]
	v_add_f64 v[198:199], v[198:199], v[204:205]
	v_fma_f64 v[204:205], v[142:143], s[28:29], -v[208:209]
	v_fma_f64 v[218:219], v[142:143], s[28:29], v[208:209]
	v_add_f64 v[204:205], v[204:205], v[206:207]
	v_mul_f64 v[206:207], v[140:141], s[4:5]
	v_add_f64 v[202:203], v[218:219], v[202:203]
	;; [unrolled: 5-line block ×3, first 2 shown]
	v_mul_f64 v[214:215], v[140:141], s[24:25]
	v_fma_f64 v[218:219], v[142:143], s[2:3], v[210:211]
	v_fma_f64 v[210:211], v[142:143], s[2:3], -v[210:211]
	v_add_f64 v[212:213], v[218:219], v[212:213]
	v_add_f64 v[210:211], v[210:211], v[216:217]
	v_fma_f64 v[216:217], v[138:139], s[26:27], -v[214:215]
	v_fma_f64 v[214:215], v[138:139], s[26:27], v[214:215]
	v_mul_f64 v[218:219], v[146:147], s[24:25]
	v_add_f64 v[216:217], v[216:217], v[226:227]
	v_add_f64 v[214:215], v[214:215], v[224:225]
	v_mul_f64 v[224:225], v[140:141], s[50:51]
	v_fma_f64 v[222:223], v[142:143], s[26:27], v[218:219]
	v_fma_f64 v[218:219], v[142:143], s[26:27], -v[218:219]
	v_fma_f64 v[226:227], v[138:139], s[52:53], -v[224:225]
	v_fma_f64 v[224:225], v[138:139], s[52:53], v[224:225]
	v_add_f64 v[218:219], v[218:219], v[228:229]
	v_mul_f64 v[228:229], v[146:147], s[50:51]
	v_add_f64 v[222:223], v[222:223], v[230:231]
	v_add_f64 v[226:227], v[226:227], v[239:240]
	;; [unrolled: 1-line block ×3, first 2 shown]
	v_mul_f64 v[237:238], v[140:141], s[44:45]
	v_fma_f64 v[230:231], v[142:143], s[52:53], v[228:229]
	v_fma_f64 v[228:229], v[142:143], s[52:53], -v[228:229]
	v_fma_f64 v[239:240], v[138:139], s[36:37], -v[237:238]
	v_fma_f64 v[237:238], v[138:139], s[36:37], v[237:238]
	v_add_f64 v[228:229], v[228:229], v[241:242]
	v_mul_f64 v[241:242], v[146:147], s[44:45]
	v_add_f64 v[230:231], v[230:231], v[243:244]
	v_add_f64 v[239:240], v[239:240], v[247:248]
	;; [unrolled: 1-line block ×3, first 2 shown]
	v_mul_f64 v[245:246], v[140:141], s[16:17]
	v_fma_f64 v[243:244], v[142:143], s[36:37], v[241:242]
	v_fma_f64 v[241:242], v[142:143], s[36:37], -v[241:242]
	v_fma_f64 v[247:248], v[138:139], s[8:9], -v[245:246]
	v_fma_f64 v[245:246], v[138:139], s[8:9], v[245:246]
	v_add_f64 v[241:242], v[241:242], v[249:250]
	v_add_f64 v[243:244], v[243:244], v[251:252]
	;; [unrolled: 1-line block ×3, first 2 shown]
	v_mul_f64 v[247:248], v[146:147], s[16:17]
	v_add_f64 v[245:246], v[245:246], v[253:254]
	v_fma_f64 v[249:250], v[142:143], s[8:9], v[247:248]
	v_fma_f64 v[247:248], v[142:143], s[8:9], -v[247:248]
	v_add_f64 v[2:3], v[249:250], v[2:3]
	v_add_f64 v[0:1], v[247:248], v[0:1]
	v_mul_f64 v[247:248], v[140:141], s[22:23]
	v_mul_f64 v[140:141], v[140:141], s[48:49]
	v_fma_f64 v[249:250], v[138:139], s[14:15], -v[247:248]
	v_fma_f64 v[247:248], v[138:139], s[14:15], v[247:248]
	v_add_f64 v[8:9], v[249:250], v[8:9]
	v_mul_f64 v[249:250], v[146:147], s[22:23]
	v_add_f64 v[233:234], v[247:248], v[233:234]
	v_mul_f64 v[146:147], v[146:147], s[48:49]
	v_fma_f64 v[247:248], v[142:143], s[14:15], -v[249:250]
	v_fma_f64 v[251:252], v[142:143], s[14:15], v[249:250]
	v_add_f64 v[10:11], v[247:248], v[10:11]
	v_fma_f64 v[247:248], v[138:139], s[42:43], -v[140:141]
	v_fma_f64 v[138:139], v[138:139], s[42:43], v[140:141]
	v_add_f64 v[140:141], v[192:193], v[144:145]
	v_add_f64 v[144:145], v[192:193], -v[144:145]
	v_add_f64 v[13:14], v[251:252], v[13:14]
	v_add_f64 v[4:5], v[247:248], v[4:5]
	;; [unrolled: 1-line block ×3, first 2 shown]
	v_fma_f64 v[138:139], v[142:143], s[42:43], -v[146:147]
	v_fma_f64 v[247:248], v[142:143], s[42:43], v[146:147]
	v_mul_f64 v[146:147], v[144:145], s[18:19]
	v_add_f64 v[142:143], v[196:197], -v[150:151]
	v_add_f64 v[6:7], v[138:139], v[6:7]
	v_add_f64 v[138:139], v[196:197], v[150:151]
	;; [unrolled: 1-line block ×3, first 2 shown]
	v_mul_f64 v[192:193], v[142:143], s[18:19]
	v_fma_f64 v[150:151], v[138:139], s[14:15], -v[146:147]
	v_fma_f64 v[146:147], v[138:139], s[14:15], v[146:147]
	v_fma_f64 v[196:197], v[140:141], s[14:15], v[192:193]
	v_fma_f64 v[192:193], v[140:141], s[14:15], -v[192:193]
	v_add_f64 v[150:151], v[150:151], v[200:201]
	v_add_f64 v[146:147], v[146:147], v[198:199]
	v_mul_f64 v[198:199], v[144:145], s[24:25]
	v_add_f64 v[196:197], v[196:197], v[202:203]
	v_mul_f64 v[202:203], v[142:143], s[24:25]
	v_add_f64 v[192:193], v[192:193], v[204:205]
	v_fma_f64 v[200:201], v[138:139], s[26:27], -v[198:199]
	v_fma_f64 v[198:199], v[138:139], s[26:27], v[198:199]
	v_fma_f64 v[204:205], v[140:141], s[26:27], v[202:203]
	v_fma_f64 v[202:203], v[140:141], s[26:27], -v[202:203]
	v_add_f64 v[200:201], v[200:201], v[208:209]
	v_add_f64 v[198:199], v[198:199], v[206:207]
	v_mul_f64 v[206:207], v[144:145], s[54:55]
	v_add_f64 v[202:203], v[202:203], v[210:211]
	v_mul_f64 v[210:211], v[142:143], s[54:55]
	v_add_f64 v[204:205], v[204:205], v[212:213]
	;; [unrolled: 10-line block ×4, first 2 shown]
	v_fma_f64 v[226:227], v[138:139], s[28:29], -v[224:225]
	v_fma_f64 v[224:225], v[138:139], s[28:29], v[224:225]
	v_fma_f64 v[230:231], v[140:141], s[28:29], v[228:229]
	v_fma_f64 v[228:229], v[140:141], s[28:29], -v[228:229]
	v_add_f64 v[226:227], v[226:227], v[239:240]
	v_add_f64 v[224:225], v[224:225], v[237:238]
	v_mul_f64 v[237:238], v[144:145], s[46:47]
	v_add_f64 v[228:229], v[228:229], v[241:242]
	v_add_f64 v[230:231], v[230:231], v[243:244]
	v_fma_f64 v[239:240], v[138:139], s[42:43], -v[237:238]
	v_fma_f64 v[237:238], v[138:139], s[42:43], v[237:238]
	v_add_f64 v[180:181], v[239:240], v[180:181]
	v_mul_f64 v[239:240], v[142:143], s[46:47]
	v_add_f64 v[237:238], v[237:238], v[245:246]
	v_fma_f64 v[241:242], v[140:141], s[42:43], v[239:240]
	v_fma_f64 v[239:240], v[140:141], s[42:43], -v[239:240]
	v_add_f64 v[2:3], v[241:242], v[2:3]
	v_add_f64 v[0:1], v[239:240], v[0:1]
	v_mul_f64 v[239:240], v[144:145], s[4:5]
	v_mul_f64 v[144:145], v[144:145], s[34:35]
	v_fma_f64 v[241:242], v[138:139], s[2:3], -v[239:240]
	v_fma_f64 v[239:240], v[138:139], s[2:3], v[239:240]
	v_add_f64 v[8:9], v[241:242], v[8:9]
	v_mul_f64 v[241:242], v[142:143], s[4:5]
	v_add_f64 v[233:234], v[239:240], v[233:234]
	v_mul_f64 v[142:143], v[142:143], s[34:35]
	v_fma_f64 v[239:240], v[140:141], s[2:3], -v[241:242]
	v_fma_f64 v[243:244], v[140:141], s[2:3], v[241:242]
	v_add_f64 v[241:242], v[176:177], -v[178:179]
	v_add_f64 v[10:11], v[239:240], v[10:11]
	v_fma_f64 v[239:240], v[138:139], s[36:37], -v[144:145]
	v_fma_f64 v[138:139], v[138:139], s[36:37], v[144:145]
	v_add_f64 v[144:145], v[188:189], -v[148:149]
	v_add_f64 v[13:14], v[243:244], v[13:14]
	v_add_f64 v[4:5], v[239:240], v[4:5]
	;; [unrolled: 1-line block ×3, first 2 shown]
	v_fma_f64 v[138:139], v[140:141], s[36:37], -v[142:143]
	v_fma_f64 v[239:240], v[140:141], s[36:37], v[142:143]
	v_add_f64 v[140:141], v[188:189], v[148:149]
	v_mul_f64 v[148:149], v[144:145], s[4:5]
	v_add_f64 v[142:143], v[190:191], -v[194:195]
	v_add_f64 v[6:7], v[138:139], v[6:7]
	v_add_f64 v[138:139], v[190:191], v[194:195]
	;; [unrolled: 1-line block ×3, first 2 shown]
	v_add_f64 v[239:240], v[184:185], -v[186:187]
	v_mul_f64 v[194:195], v[142:143], s[50:51]
	v_fma_f64 v[188:189], v[138:139], s[2:3], -v[148:149]
	v_fma_f64 v[148:149], v[138:139], s[2:3], v[148:149]
	v_add_f64 v[150:151], v[188:189], v[150:151]
	v_mul_f64 v[188:189], v[142:143], s[4:5]
	v_add_f64 v[146:147], v[148:149], v[146:147]
	v_fma_f64 v[190:191], v[140:141], s[2:3], v[188:189]
	v_fma_f64 v[148:149], v[140:141], s[2:3], -v[188:189]
	v_mul_f64 v[188:189], v[144:145], s[50:51]
	v_add_f64 v[190:191], v[190:191], v[196:197]
	v_add_f64 v[148:149], v[148:149], v[192:193]
	v_fma_f64 v[192:193], v[138:139], s[52:53], -v[188:189]
	v_fma_f64 v[188:189], v[138:139], s[52:53], v[188:189]
	v_fma_f64 v[196:197], v[140:141], s[52:53], v[194:195]
	v_fma_f64 v[194:195], v[140:141], s[52:53], -v[194:195]
	v_add_f64 v[192:193], v[192:193], v[200:201]
	v_add_f64 v[188:189], v[188:189], v[198:199]
	v_mul_f64 v[198:199], v[144:145], s[16:17]
	v_add_f64 v[194:195], v[194:195], v[202:203]
	v_mul_f64 v[202:203], v[142:143], s[16:17]
	v_add_f64 v[196:197], v[196:197], v[204:205]
	v_fma_f64 v[200:201], v[138:139], s[8:9], -v[198:199]
	v_fma_f64 v[198:199], v[138:139], s[8:9], v[198:199]
	v_fma_f64 v[204:205], v[140:141], s[8:9], v[202:203]
	v_fma_f64 v[202:203], v[140:141], s[8:9], -v[202:203]
	v_add_f64 v[200:201], v[200:201], v[208:209]
	v_add_f64 v[198:199], v[198:199], v[206:207]
	v_mul_f64 v[206:207], v[144:145], s[48:49]
	v_add_f64 v[202:203], v[202:203], v[210:211]
	v_mul_f64 v[210:211], v[142:143], s[48:49]
	;; [unrolled: 10-line block ×3, first 2 shown]
	v_add_f64 v[212:213], v[212:213], v[222:223]
	v_fma_f64 v[216:217], v[138:139], s[14:15], -v[214:215]
	v_fma_f64 v[214:215], v[138:139], s[14:15], v[214:215]
	v_fma_f64 v[222:223], v[140:141], s[14:15], v[218:219]
	v_fma_f64 v[218:219], v[140:141], s[14:15], -v[218:219]
	v_add_f64 v[216:217], v[216:217], v[226:227]
	v_add_f64 v[214:215], v[214:215], v[224:225]
	v_mul_f64 v[224:225], v[144:145], s[34:35]
	v_add_f64 v[218:219], v[218:219], v[228:229]
	v_add_f64 v[222:223], v[222:223], v[230:231]
	v_fma_f64 v[226:227], v[138:139], s[36:37], -v[224:225]
	v_fma_f64 v[224:225], v[138:139], s[36:37], v[224:225]
	v_add_f64 v[180:181], v[226:227], v[180:181]
	v_mul_f64 v[226:227], v[142:143], s[34:35]
	v_add_f64 v[224:225], v[224:225], v[237:238]
	v_add_f64 v[237:238], v[176:177], v[178:179]
	v_mul_f64 v[178:179], v[241:242], s[38:39]
	v_fma_f64 v[228:229], v[140:141], s[36:37], v[226:227]
	v_fma_f64 v[226:227], v[140:141], s[36:37], -v[226:227]
	v_add_f64 v[2:3], v[228:229], v[2:3]
	v_add_f64 v[0:1], v[226:227], v[0:1]
	v_mul_f64 v[226:227], v[144:145], s[40:41]
	v_mul_f64 v[144:145], v[144:145], s[38:39]
	v_fma_f64 v[228:229], v[138:139], s[26:27], -v[226:227]
	v_fma_f64 v[226:227], v[138:139], s[26:27], v[226:227]
	v_add_f64 v[8:9], v[228:229], v[8:9]
	v_mul_f64 v[228:229], v[142:143], s[40:41]
	v_mul_f64 v[142:143], v[142:143], s[38:39]
	v_fma_f64 v[230:231], v[140:141], s[26:27], v[228:229]
	v_add_f64 v[13:14], v[230:231], v[13:14]
	v_add_f64 v[230:231], v[226:227], v[233:234]
	v_fma_f64 v[226:227], v[140:141], s[26:27], -v[228:229]
	v_add_f64 v[233:234], v[184:185], v[186:187]
	v_mul_f64 v[184:185], v[239:240], s[38:39]
	v_add_f64 v[10:11], v[226:227], v[10:11]
	v_fma_f64 v[226:227], v[138:139], s[28:29], -v[144:145]
	v_fma_f64 v[138:139], v[138:139], s[28:29], v[144:145]
	v_fma_f64 v[176:177], v[237:238], s[28:29], v[184:185]
	v_fma_f64 v[184:185], v[237:238], s[28:29], -v[184:185]
	v_add_f64 v[4:5], v[226:227], v[4:5]
	v_add_f64 v[228:229], v[138:139], v[136:137]
	v_fma_f64 v[136:137], v[140:141], s[28:29], -v[142:143]
	v_mul_f64 v[138:139], v[241:242], s[6:7]
	v_fma_f64 v[226:227], v[140:141], s[28:29], v[142:143]
	v_mul_f64 v[140:141], v[239:240], s[6:7]
	v_add_f64 v[184:185], v[184:185], v[202:203]
	v_add_f64 v[176:177], v[176:177], v[204:205]
	;; [unrolled: 1-line block ×3, first 2 shown]
	v_fma_f64 v[136:137], v[233:234], s[8:9], -v[138:139]
	v_add_f64 v[220:221], v[226:227], v[220:221]
	v_fma_f64 v[138:139], v[233:234], s[8:9], v[138:139]
	v_add_f64 v[226:227], v[136:137], v[150:151]
	v_fma_f64 v[136:137], v[237:238], s[8:9], v[140:141]
	v_add_f64 v[138:139], v[138:139], v[146:147]
	v_mul_f64 v[146:147], v[241:242], s[44:45]
	v_fma_f64 v[140:141], v[237:238], s[8:9], -v[140:141]
	v_fma_f64 v[150:151], v[233:234], s[28:29], -v[178:179]
	v_fma_f64 v[178:179], v[233:234], s[28:29], v[178:179]
	v_add_f64 v[136:137], v[136:137], v[190:191]
	v_mul_f64 v[190:191], v[241:242], s[18:19]
	v_fma_f64 v[142:143], v[233:234], s[36:37], -v[146:147]
	v_add_f64 v[140:141], v[140:141], v[148:149]
	v_mul_f64 v[148:149], v[239:240], s[44:45]
	v_fma_f64 v[146:147], v[233:234], s[36:37], v[146:147]
	v_add_f64 v[178:179], v[178:179], v[198:199]
	v_mul_f64 v[198:199], v[241:242], s[50:51]
	v_add_f64 v[150:151], v[150:151], v[200:201]
	v_mul_f64 v[200:201], v[239:240], s[50:51]
	v_fma_f64 v[186:187], v[233:234], s[14:15], -v[190:191]
	v_fma_f64 v[190:191], v[233:234], s[14:15], v[190:191]
	v_add_f64 v[142:143], v[142:143], v[192:193]
	v_mul_f64 v[192:193], v[239:240], s[18:19]
	v_fma_f64 v[144:145], v[237:238], s[36:37], v[148:149]
	v_add_f64 v[146:147], v[146:147], v[188:189]
	v_fma_f64 v[148:149], v[237:238], s[36:37], -v[148:149]
	v_add_f64 v[186:187], v[186:187], v[208:209]
	v_add_f64 v[190:191], v[190:191], v[206:207]
	v_mul_f64 v[206:207], v[241:242], s[20:21]
	v_fma_f64 v[188:189], v[237:238], s[14:15], v[192:193]
	v_fma_f64 v[192:193], v[237:238], s[14:15], -v[192:193]
	v_add_f64 v[144:145], v[144:145], v[196:197]
	v_add_f64 v[148:149], v[148:149], v[194:195]
	v_fma_f64 v[194:195], v[233:234], s[52:53], -v[198:199]
	v_fma_f64 v[198:199], v[233:234], s[52:53], v[198:199]
	v_fma_f64 v[196:197], v[237:238], s[52:53], v[200:201]
	v_fma_f64 v[200:201], v[237:238], s[52:53], -v[200:201]
	v_fma_f64 v[202:203], v[233:234], s[2:3], -v[206:207]
	v_add_f64 v[188:189], v[188:189], v[212:213]
	v_add_f64 v[192:193], v[192:193], v[210:211]
	;; [unrolled: 1-line block ×7, first 2 shown]
	v_mul_f64 v[180:181], v[239:240], s[20:21]
	v_fma_f64 v[204:205], v[237:238], s[2:3], v[180:181]
	v_add_f64 v[204:205], v[204:205], v[2:3]
	v_fma_f64 v[2:3], v[233:234], s[2:3], v[206:207]
	v_add_f64 v[206:207], v[2:3], v[224:225]
	v_fma_f64 v[2:3], v[237:238], s[2:3], -v[180:181]
	v_add_f64 v[208:209], v[2:3], v[0:1]
	v_mul_f64 v[0:1], v[241:242], s[46:47]
	v_fma_f64 v[2:3], v[233:234], s[42:43], -v[0:1]
	v_fma_f64 v[0:1], v[233:234], s[42:43], v[0:1]
	v_add_f64 v[210:211], v[2:3], v[8:9]
	v_mul_f64 v[2:3], v[239:240], s[46:47]
	v_add_f64 v[214:215], v[0:1], v[230:231]
	v_add_f64 v[230:231], v[172:173], v[174:175]
	v_add_f64 v[172:173], v[172:173], -v[174:175]
	v_fma_f64 v[0:1], v[237:238], s[42:43], -v[2:3]
	v_fma_f64 v[8:9], v[237:238], s[42:43], v[2:3]
	v_add_f64 v[216:217], v[0:1], v[10:11]
	v_mul_f64 v[0:1], v[241:242], s[24:25]
	v_add_f64 v[212:213], v[8:9], v[13:14]
	v_fma_f64 v[2:3], v[233:234], s[26:27], -v[0:1]
	v_fma_f64 v[0:1], v[233:234], s[26:27], v[0:1]
	v_add_f64 v[233:234], v[160:161], -v[162:163]
	v_add_f64 v[218:219], v[2:3], v[4:5]
	v_mul_f64 v[2:3], v[239:240], s[24:25]
	v_add_f64 v[222:223], v[0:1], v[228:229]
	v_add_f64 v[228:229], v[168:169], v[170:171]
	v_fma_f64 v[0:1], v[237:238], s[26:27], -v[2:3]
	v_fma_f64 v[4:5], v[237:238], s[26:27], v[2:3]
	v_add_f64 v[224:225], v[0:1], v[6:7]
	v_add_f64 v[0:1], v[168:169], -v[170:171]
	v_mul_f64 v[6:7], v[172:173], s[24:25]
	v_add_f64 v[220:221], v[4:5], v[220:221]
	v_mul_f64 v[2:3], v[0:1], s[24:25]
	v_fma_f64 v[8:9], v[228:229], s[26:27], v[6:7]
	v_fma_f64 v[6:7], v[228:229], s[26:27], -v[6:7]
	v_mul_f64 v[10:11], v[0:1], s[16:17]
	v_fma_f64 v[4:5], v[230:231], s[26:27], -v[2:3]
	v_add_f64 v[8:9], v[8:9], v[136:137]
	v_fma_f64 v[2:3], v[230:231], s[26:27], v[2:3]
	v_mul_f64 v[136:137], v[172:173], s[16:17]
	v_add_f64 v[6:7], v[6:7], v[140:141]
	v_fma_f64 v[13:14], v[230:231], s[8:9], -v[10:11]
	v_fma_f64 v[10:11], v[230:231], s[8:9], v[10:11]
	v_mul_f64 v[140:141], v[0:1], s[46:47]
	v_add_f64 v[4:5], v[4:5], v[226:227]
	v_add_f64 v[2:3], v[2:3], v[138:139]
	v_fma_f64 v[138:139], v[228:229], s[8:9], v[136:137]
	v_fma_f64 v[136:137], v[228:229], s[8:9], -v[136:137]
	v_add_f64 v[13:14], v[13:14], v[142:143]
	v_add_f64 v[10:11], v[10:11], v[146:147]
	v_fma_f64 v[142:143], v[230:231], s[42:43], -v[140:141]
	v_fma_f64 v[140:141], v[230:231], s[42:43], v[140:141]
	v_add_f64 v[138:139], v[138:139], v[144:145]
	v_mul_f64 v[144:145], v[172:173], s[46:47]
	v_add_f64 v[136:137], v[136:137], v[148:149]
	v_add_f64 v[142:143], v[142:143], v[150:151]
	;; [unrolled: 1-line block ×3, first 2 shown]
	v_fma_f64 v[146:147], v[228:229], s[42:43], v[144:145]
	v_fma_f64 v[144:145], v[228:229], s[42:43], -v[144:145]
	v_add_f64 v[148:149], v[146:147], v[176:177]
	v_add_f64 v[150:151], v[144:145], v[184:185]
	v_mul_f64 v[144:145], v[0:1], s[34:35]
	v_fma_f64 v[146:147], v[230:231], s[36:37], -v[144:145]
	v_fma_f64 v[144:145], v[230:231], s[36:37], v[144:145]
	v_add_f64 v[168:169], v[146:147], v[186:187]
	v_mul_f64 v[146:147], v[172:173], s[34:35]
	v_add_f64 v[174:175], v[144:145], v[190:191]
	v_fma_f64 v[144:145], v[228:229], s[36:37], -v[146:147]
	v_fma_f64 v[170:171], v[228:229], s[36:37], v[146:147]
	v_add_f64 v[176:177], v[144:145], v[192:193]
	v_mul_f64 v[144:145], v[0:1], s[20:21]
	v_add_f64 v[170:171], v[170:171], v[188:189]
	;; [unrolled: 5-line block ×5, first 2 shown]
	v_fma_f64 v[144:145], v[228:229], s[28:29], -v[146:147]
	v_fma_f64 v[190:191], v[228:229], s[28:29], v[146:147]
	v_add_f64 v[194:195], v[144:145], v[208:209]
	v_mul_f64 v[144:145], v[0:1], s[50:51]
	v_mul_f64 v[0:1], v[0:1], s[22:23]
	v_add_f64 v[190:191], v[190:191], v[204:205]
	v_fma_f64 v[146:147], v[230:231], s[52:53], -v[144:145]
	v_fma_f64 v[144:145], v[230:231], s[52:53], v[144:145]
	v_add_f64 v[196:197], v[146:147], v[210:211]
	v_mul_f64 v[146:147], v[172:173], s[50:51]
	v_add_f64 v[200:201], v[144:145], v[214:215]
	v_fma_f64 v[144:145], v[228:229], s[52:53], -v[146:147]
	v_fma_f64 v[198:199], v[228:229], s[52:53], v[146:147]
	v_add_f64 v[210:211], v[144:145], v[216:217]
	v_fma_f64 v[144:145], v[230:231], s[14:15], -v[0:1]
	v_fma_f64 v[0:1], v[230:231], s[14:15], v[0:1]
	v_add_f64 v[230:231], v[164:165], -v[166:167]
	v_add_f64 v[198:199], v[198:199], v[212:213]
	v_add_f64 v[226:227], v[144:145], v[218:219]
	v_mul_f64 v[144:145], v[172:173], s[22:23]
	v_add_f64 v[0:1], v[0:1], v[222:223]
	v_fma_f64 v[146:147], v[228:229], s[14:15], v[144:145]
	v_fma_f64 v[144:145], v[228:229], s[14:15], -v[144:145]
	v_add_f64 v[228:229], v[160:161], v[162:163]
	v_add_f64 v[220:221], v[146:147], v[220:221]
	;; [unrolled: 1-line block ×4, first 2 shown]
	v_mul_f64 v[144:145], v[233:234], s[34:35]
	v_fma_f64 v[146:147], v[224:225], s[36:37], -v[144:145]
	v_fma_f64 v[144:145], v[224:225], s[36:37], v[144:145]
	v_add_f64 v[4:5], v[146:147], v[4:5]
	v_mul_f64 v[146:147], v[230:231], s[34:35]
	v_add_f64 v[2:3], v[144:145], v[2:3]
	v_fma_f64 v[144:145], v[228:229], s[36:37], -v[146:147]
	v_fma_f64 v[160:161], v[228:229], s[36:37], v[146:147]
	v_add_f64 v[6:7], v[144:145], v[6:7]
	v_mul_f64 v[144:145], v[233:234], s[22:23]
	v_add_f64 v[8:9], v[160:161], v[8:9]
	v_fma_f64 v[146:147], v[224:225], s[14:15], -v[144:145]
	v_add_f64 v[13:14], v[146:147], v[13:14]
	v_mul_f64 v[146:147], v[230:231], s[22:23]
	v_fma_f64 v[160:161], v[228:229], s[14:15], v[146:147]
	v_add_f64 v[237:238], v[160:161], v[138:139]
	v_fma_f64 v[138:139], v[224:225], s[14:15], v[144:145]
	v_add_f64 v[144:145], v[138:139], v[10:11]
	v_fma_f64 v[10:11], v[228:229], s[14:15], -v[146:147]
	v_add_f64 v[146:147], v[10:11], v[136:137]
	v_mul_f64 v[10:11], v[233:234], s[4:5]
	v_fma_f64 v[136:137], v[224:225], s[2:3], -v[10:11]
	v_fma_f64 v[10:11], v[224:225], s[2:3], v[10:11]
	v_add_f64 v[218:219], v[136:137], v[142:143]
	v_mul_f64 v[136:137], v[230:231], s[4:5]
	v_add_f64 v[214:215], v[10:11], v[140:141]
	v_fma_f64 v[10:11], v[228:229], s[2:3], -v[136:137]
	v_fma_f64 v[138:139], v[228:229], s[2:3], v[136:137]
	v_add_f64 v[212:213], v[10:11], v[150:151]
	v_mul_f64 v[10:11], v[233:234], s[40:41]
	v_add_f64 v[216:217], v[138:139], v[148:149]
	v_fma_f64 v[136:137], v[224:225], s[26:27], -v[10:11]
	v_fma_f64 v[10:11], v[224:225], s[26:27], v[10:11]
	v_add_f64 v[160:161], v[136:137], v[168:169]
	v_mul_f64 v[136:137], v[230:231], s[40:41]
	v_add_f64 v[164:165], v[10:11], v[174:175]
	v_fma_f64 v[10:11], v[228:229], s[26:27], -v[136:137]
	v_fma_f64 v[138:139], v[228:229], s[26:27], v[136:137]
	v_add_f64 v[166:167], v[10:11], v[176:177]
	v_mul_f64 v[10:11], v[233:234], s[46:47]
	v_add_f64 v[162:163], v[138:139], v[170:171]
	v_fma_f64 v[136:137], v[224:225], s[42:43], -v[10:11]
	v_fma_f64 v[10:11], v[224:225], s[42:43], v[10:11]
	v_add_f64 v[168:169], v[136:137], v[178:179]
	v_mul_f64 v[136:137], v[230:231], s[46:47]
	v_add_f64 v[172:173], v[10:11], v[184:185]
	v_fma_f64 v[10:11], v[228:229], s[42:43], -v[136:137]
	v_fma_f64 v[138:139], v[228:229], s[42:43], v[136:137]
	v_add_f64 v[174:175], v[10:11], v[186:187]
	v_mul_f64 v[10:11], v[233:234], s[50:51]
	v_add_f64 v[170:171], v[138:139], v[180:181]
	v_add_f64 v[186:187], v[152:153], v[154:155]
	v_fma_f64 v[136:137], v[224:225], s[52:53], -v[10:11]
	v_fma_f64 v[10:11], v[224:225], s[52:53], v[10:11]
	v_add_f64 v[176:177], v[136:137], v[188:189]
	v_mul_f64 v[136:137], v[230:231], s[50:51]
	v_add_f64 v[208:209], v[10:11], v[192:193]
	v_fma_f64 v[10:11], v[228:229], s[52:53], -v[136:137]
	v_fma_f64 v[138:139], v[228:229], s[52:53], v[136:137]
	v_add_f64 v[206:207], v[10:11], v[194:195]
	v_mul_f64 v[10:11], v[233:234], s[38:39]
	v_add_f64 v[178:179], v[138:139], v[190:191]
	v_add_f64 v[190:191], v[156:157], v[158:159]
	v_fma_f64 v[136:137], v[224:225], s[28:29], -v[10:11]
	v_fma_f64 v[10:11], v[224:225], s[28:29], v[10:11]
	v_add_f64 v[204:205], v[136:137], v[196:197]
	v_mul_f64 v[136:137], v[230:231], s[38:39]
	v_add_f64 v[200:201], v[10:11], v[200:201]
	v_add_f64 v[196:197], v[156:157], -v[158:159]
	v_fma_f64 v[138:139], v[228:229], s[28:29], v[136:137]
	v_fma_f64 v[10:11], v[228:229], s[28:29], -v[136:137]
	v_add_f64 v[202:203], v[138:139], v[198:199]
	v_add_f64 v[198:199], v[10:11], v[210:211]
	v_mul_f64 v[10:11], v[233:234], s[6:7]
	v_add_f64 v[210:211], v[152:153], -v[154:155]
	v_fma_f64 v[136:137], v[224:225], s[8:9], -v[10:11]
	v_fma_f64 v[10:11], v[224:225], s[8:9], v[10:11]
	v_add_f64 v[194:195], v[136:137], v[226:227]
	v_mul_f64 v[136:137], v[230:231], s[6:7]
	v_add_f64 v[188:189], v[10:11], v[0:1]
	v_fma_f64 v[0:1], v[228:229], s[8:9], -v[136:137]
	v_fma_f64 v[138:139], v[228:229], s[8:9], v[136:137]
	v_add_f64 v[184:185], v[0:1], v[222:223]
	v_mul_f64 v[0:1], v[210:211], s[50:51]
	v_add_f64 v[192:193], v[138:139], v[220:221]
	;; [unrolled: 5-line block ×15, first 2 shown]
	v_fma_f64 v[4:5], v[186:187], s[8:9], v[2:3]
	v_fma_f64 v[0:1], v[186:187], s[8:9], -v[2:3]
	v_add_f64 v[206:207], v[4:5], v[202:203]
	v_add_f64 v[202:203], v[0:1], v[198:199]
	v_mul_f64 v[0:1], v[210:211], s[20:21]
	v_fma_f64 v[2:3], v[190:191], s[2:3], -v[0:1]
	v_fma_f64 v[0:1], v[190:191], s[2:3], v[0:1]
	v_add_f64 v[194:195], v[2:3], v[194:195]
	v_mul_f64 v[2:3], v[196:197], s[20:21]
	v_add_f64 v[188:189], v[0:1], v[188:189]
	v_fma_f64 v[4:5], v[186:187], s[2:3], v[2:3]
	v_fma_f64 v[0:1], v[186:187], s[2:3], -v[2:3]
	v_add_f64 v[196:197], v[4:5], v[192:193]
	v_add_f64 v[190:191], v[0:1], v[184:185]
	ds_write_b128 v232, v[132:135]
	ds_write_b128 v232, v[140:143] offset:272
	ds_write_b128 v232, v[148:151] offset:544
	ds_write_b128 v232, v[152:155] offset:816
	ds_write_b128 v232, v[160:163] offset:1088
	ds_write_b128 v232, v[168:171] offset:1360
	ds_write_b128 v232, v[176:179] offset:1632
	ds_write_b128 v232, v[204:207] offset:1904
	ds_write_b128 v232, v[194:197] offset:2176
	ds_write_b128 v232, v[188:191] offset:2448
	ds_write_b128 v232, v[200:203] offset:2720
	ds_write_b128 v232, v[212:215] offset:2992
	ds_write_b128 v232, v[172:175] offset:3264
	ds_write_b128 v232, v[164:167] offset:3536
	ds_write_b128 v232, v[156:159] offset:3808
	ds_write_b128 v232, v[144:147] offset:4080
	ds_write_b128 v232, v[136:139] offset:4352
	s_waitcnt lgkmcnt(0)
	s_barrier
	buffer_gl0_inv
	global_load_dwordx4 v[136:139], v[182:183], off offset:528
	ds_read_b128 v[132:135], v232
	v_add_co_u32 v0, vcc_lo, 0x1210, v12
	v_add_co_ci_u32_e32 v1, vcc_lo, 0, v235, vcc_lo
	s_waitcnt vmcnt(0) lgkmcnt(0)
	v_mul_f64 v[2:3], v[134:135], v[138:139]
	v_fma_f64 v[140:141], v[132:133], v[136:137], -v[2:3]
	v_mul_f64 v[2:3], v[132:133], v[138:139]
	v_fma_f64 v[142:143], v[134:135], v[136:137], v[2:3]
	global_load_dwordx4 v[136:139], v[0:1], off offset:272
	ds_read_b128 v[132:135], v232 offset:272
	ds_write_b128 v232, v[140:143]
	s_waitcnt vmcnt(0) lgkmcnt(1)
	v_mul_f64 v[2:3], v[134:135], v[138:139]
	v_fma_f64 v[140:141], v[132:133], v[136:137], -v[2:3]
	v_mul_f64 v[2:3], v[132:133], v[138:139]
	v_fma_f64 v[142:143], v[134:135], v[136:137], v[2:3]
	global_load_dwordx4 v[136:139], v[0:1], off offset:544
	ds_read_b128 v[132:135], v232 offset:544
	ds_write_b128 v232, v[140:143] offset:272
	s_waitcnt vmcnt(0) lgkmcnt(1)
	v_mul_f64 v[2:3], v[134:135], v[138:139]
	v_fma_f64 v[140:141], v[132:133], v[136:137], -v[2:3]
	v_mul_f64 v[2:3], v[132:133], v[138:139]
	v_fma_f64 v[142:143], v[134:135], v[136:137], v[2:3]
	global_load_dwordx4 v[136:139], v[0:1], off offset:816
	ds_read_b128 v[132:135], v232 offset:816
	ds_write_b128 v232, v[140:143] offset:544
	;; [unrolled: 8-line block ×6, first 2 shown]
	s_waitcnt vmcnt(0) lgkmcnt(1)
	v_mul_f64 v[0:1], v[134:135], v[138:139]
	v_fma_f64 v[140:141], v[132:133], v[136:137], -v[0:1]
	v_mul_f64 v[0:1], v[132:133], v[138:139]
	v_fma_f64 v[142:143], v[134:135], v[136:137], v[0:1]
	v_add_co_u32 v0, vcc_lo, 0x1800, v12
	v_add_co_ci_u32_e32 v1, vcc_lo, 0, v235, vcc_lo
	ds_read_b128 v[132:135], v232 offset:2176
	global_load_dwordx4 v[136:139], v[0:1], off offset:656
	ds_write_b128 v232, v[140:143] offset:1904
	s_waitcnt vmcnt(0) lgkmcnt(1)
	v_mul_f64 v[2:3], v[134:135], v[138:139]
	v_fma_f64 v[140:141], v[132:133], v[136:137], -v[2:3]
	v_mul_f64 v[2:3], v[132:133], v[138:139]
	v_fma_f64 v[142:143], v[134:135], v[136:137], v[2:3]
	global_load_dwordx4 v[136:139], v[0:1], off offset:928
	ds_read_b128 v[132:135], v232 offset:2448
	ds_write_b128 v232, v[140:143] offset:2176
	s_waitcnt vmcnt(0) lgkmcnt(1)
	v_mul_f64 v[2:3], v[134:135], v[138:139]
	v_fma_f64 v[140:141], v[132:133], v[136:137], -v[2:3]
	v_mul_f64 v[2:3], v[132:133], v[138:139]
	v_fma_f64 v[142:143], v[134:135], v[136:137], v[2:3]
	global_load_dwordx4 v[136:139], v[0:1], off offset:1200
	ds_read_b128 v[132:135], v232 offset:2720
	;; [unrolled: 8-line block ×5, first 2 shown]
	ds_write_b128 v232, v[140:143] offset:3264
	s_waitcnt vmcnt(0) lgkmcnt(1)
	v_mul_f64 v[0:1], v[134:135], v[138:139]
	v_fma_f64 v[140:141], v[132:133], v[136:137], -v[0:1]
	v_mul_f64 v[0:1], v[132:133], v[138:139]
	v_fma_f64 v[142:143], v[134:135], v[136:137], v[0:1]
	v_add_co_u32 v0, vcc_lo, 0x2000, v12
	v_add_co_ci_u32_e32 v1, vcc_lo, 0, v235, vcc_lo
	ds_read_b128 v[132:135], v232 offset:3808
	global_load_dwordx4 v[136:139], v[0:1], off offset:240
	ds_write_b128 v232, v[140:143] offset:3536
	s_waitcnt vmcnt(0) lgkmcnt(1)
	v_mul_f64 v[2:3], v[134:135], v[138:139]
	v_fma_f64 v[140:141], v[132:133], v[136:137], -v[2:3]
	v_mul_f64 v[2:3], v[132:133], v[138:139]
	v_fma_f64 v[142:143], v[134:135], v[136:137], v[2:3]
	global_load_dwordx4 v[136:139], v[0:1], off offset:512
	ds_read_b128 v[132:135], v232 offset:4080
	ds_write_b128 v232, v[140:143] offset:3808
	s_waitcnt vmcnt(0) lgkmcnt(1)
	v_mul_f64 v[2:3], v[134:135], v[138:139]
	v_fma_f64 v[140:141], v[132:133], v[136:137], -v[2:3]
	v_mul_f64 v[2:3], v[132:133], v[138:139]
	v_fma_f64 v[142:143], v[134:135], v[136:137], v[2:3]
	global_load_dwordx4 v[136:139], v[0:1], off offset:784
	ds_read_b128 v[132:135], v232 offset:4352
	ds_write_b128 v232, v[140:143] offset:4080
	s_waitcnt vmcnt(0) lgkmcnt(1)
	v_mul_f64 v[0:1], v[134:135], v[138:139]
	v_fma_f64 v[140:141], v[132:133], v[136:137], -v[0:1]
	v_mul_f64 v[0:1], v[132:133], v[138:139]
	v_fma_f64 v[142:143], v[134:135], v[136:137], v[0:1]
	ds_write_b128 v232, v[140:143] offset:4352
	s_waitcnt lgkmcnt(0)
	s_barrier
	buffer_gl0_inv
	ds_read_b128 v[168:171], v232
	ds_read_b128 v[172:175], v232 offset:272
	ds_read_b128 v[176:179], v232 offset:544
	;; [unrolled: 1-line block ×16, first 2 shown]
	s_waitcnt lgkmcnt(0)
	s_barrier
	buffer_gl0_inv
	v_add_f64 v[2:3], v[170:171], v[174:175]
	v_add_f64 v[0:1], v[168:169], v[172:173]
	v_add_f64 v[4:5], v[172:173], -v[202:203]
	v_add_f64 v[6:7], v[174:175], -v[204:205]
	v_add_f64 v[2:3], v[2:3], v[178:179]
	v_add_f64 v[0:1], v[0:1], v[176:177]
	v_mul_f64 v[8:9], v[6:7], s[46:47]
	v_mul_f64 v[212:213], v[6:7], s[4:5]
	v_mul_f64 v[220:221], v[6:7], s[6:7]
	v_mul_f64 v[228:229], v[6:7], s[24:25]
	v_mul_f64 v[239:240], v[6:7], s[34:35]
	v_add_f64 v[2:3], v[2:3], v[184:185]
	v_add_f64 v[0:1], v[0:1], v[182:183]
	;; [unrolled: 1-line block ×30, first 2 shown]
	v_mul_f64 v[172:173], v[6:7], s[30:31]
	v_mul_f64 v[204:205], v[6:7], s[18:19]
	;; [unrolled: 1-line block ×11, first 2 shown]
	v_fma_f64 v[10:11], v[0:1], s[42:43], v[8:9]
	v_fma_f64 v[8:9], v[0:1], s[42:43], -v[8:9]
	v_fma_f64 v[174:175], v[0:1], s[28:29], v[172:173]
	v_fma_f64 v[172:173], v[0:1], s[28:29], -v[172:173]
	;; [unrolled: 2-line block ×7, first 2 shown]
	v_fma_f64 v[14:15], v[4:5], s[48:49], v[12:13]
	v_fma_f64 v[12:13], v[4:5], s[46:47], v[12:13]
	;; [unrolled: 1-line block ×17, first 2 shown]
	v_fma_f64 v[0:1], v[0:1], s[52:53], -v[6:7]
	v_add_f64 v[10:11], v[168:169], v[10:11]
	v_add_f64 v[8:9], v[168:169], v[8:9]
	;; [unrolled: 1-line block ×20, first 2 shown]
	v_add_f64 v[170:171], v[178:179], -v[200:201]
	v_add_f64 v[206:207], v[168:169], v[206:207]
	v_add_f64 v[204:205], v[168:169], v[204:205]
	;; [unrolled: 1-line block ×13, first 2 shown]
	v_add_f64 v[168:169], v[176:177], -v[198:199]
	v_add_f64 v[6:7], v[178:179], v[200:201]
	v_mul_f64 v[176:177], v[170:171], s[30:31]
	v_mul_f64 v[200:201], v[6:7], s[26:27]
	v_fma_f64 v[178:179], v[4:5], s[28:29], v[176:177]
	v_fma_f64 v[176:177], v[4:5], s[28:29], -v[176:177]
	v_add_f64 v[10:11], v[178:179], v[10:11]
	v_mul_f64 v[178:179], v[6:7], s[28:29]
	v_add_f64 v[8:9], v[176:177], v[8:9]
	v_fma_f64 v[176:177], v[168:169], s[30:31], v[178:179]
	v_fma_f64 v[198:199], v[168:169], s[38:39], v[178:179]
	v_add_f64 v[12:13], v[176:177], v[12:13]
	v_mul_f64 v[176:177], v[170:171], s[4:5]
	v_add_f64 v[14:15], v[198:199], v[14:15]
	v_fma_f64 v[178:179], v[4:5], s[2:3], v[176:177]
	v_fma_f64 v[176:177], v[4:5], s[2:3], -v[176:177]
	v_add_f64 v[174:175], v[178:179], v[174:175]
	v_mul_f64 v[178:179], v[6:7], s[2:3]
	v_add_f64 v[172:173], v[176:177], v[172:173]
	v_fma_f64 v[198:199], v[168:169], s[20:21], v[178:179]
	v_fma_f64 v[176:177], v[168:169], s[4:5], v[178:179]
	v_mul_f64 v[178:179], v[170:171], s[24:25]
	v_add_f64 v[198:199], v[198:199], v[202:203]
	v_add_f64 v[176:177], v[176:177], v[180:181]
	v_fma_f64 v[180:181], v[4:5], s[26:27], v[178:179]
	v_fma_f64 v[178:179], v[4:5], s[26:27], -v[178:179]
	v_fma_f64 v[202:203], v[168:169], s[40:41], v[200:201]
	v_fma_f64 v[200:201], v[168:169], s[24:25], v[200:201]
	v_add_f64 v[180:181], v[180:181], v[206:207]
	v_add_f64 v[178:179], v[178:179], v[204:205]
	v_mul_f64 v[204:205], v[170:171], s[50:51]
	v_add_f64 v[200:201], v[200:201], v[208:209]
	v_mul_f64 v[208:209], v[6:7], s[52:53]
	v_add_f64 v[202:203], v[202:203], v[210:211]
	v_fma_f64 v[206:207], v[4:5], s[52:53], v[204:205]
	v_fma_f64 v[204:205], v[4:5], s[52:53], -v[204:205]
	v_fma_f64 v[210:211], v[168:169], s[54:55], v[208:209]
	v_fma_f64 v[208:209], v[168:169], s[50:51], v[208:209]
	v_add_f64 v[206:207], v[206:207], v[214:215]
	v_add_f64 v[204:205], v[204:205], v[212:213]
	v_mul_f64 v[212:213], v[170:171], s[44:45]
	v_add_f64 v[208:209], v[208:209], v[216:217]
	v_mul_f64 v[216:217], v[6:7], s[36:37]
	;; [unrolled: 10-line block ×3, first 2 shown]
	v_add_f64 v[218:219], v[218:219], v[226:227]
	v_fma_f64 v[222:223], v[4:5], s[8:9], v[220:221]
	v_fma_f64 v[220:221], v[4:5], s[8:9], -v[220:221]
	v_fma_f64 v[226:227], v[168:169], s[6:7], v[224:225]
	v_fma_f64 v[224:225], v[168:169], s[16:17], v[224:225]
	v_add_f64 v[222:223], v[222:223], v[230:231]
	v_add_f64 v[220:221], v[220:221], v[228:229]
	v_mul_f64 v[228:229], v[170:171], s[22:23]
	v_mul_f64 v[170:171], v[170:171], s[48:49]
	v_add_f64 v[224:225], v[224:225], v[233:234]
	v_mul_f64 v[233:234], v[6:7], s[14:15]
	v_mul_f64 v[6:7], v[6:7], s[42:43]
	v_add_f64 v[226:227], v[226:227], v[237:238]
	v_fma_f64 v[230:231], v[4:5], s[14:15], v[228:229]
	v_fma_f64 v[228:229], v[4:5], s[14:15], -v[228:229]
	v_fma_f64 v[237:238], v[168:169], s[18:19], v[233:234]
	v_fma_f64 v[233:234], v[168:169], s[22:23], v[233:234]
	v_add_f64 v[230:231], v[230:231], v[241:242]
	v_add_f64 v[228:229], v[228:229], v[239:240]
	v_fma_f64 v[239:240], v[4:5], s[42:43], v[170:171]
	v_fma_f64 v[4:5], v[4:5], s[42:43], -v[170:171]
	v_add_f64 v[170:171], v[184:185], -v[196:197]
	v_fma_f64 v[241:242], v[168:169], s[46:47], v[6:7]
	v_add_f64 v[233:234], v[233:234], v[243:244]
	v_add_f64 v[237:238], v[237:238], v[245:246]
	;; [unrolled: 1-line block ×4, first 2 shown]
	v_fma_f64 v[4:5], v[168:169], s[48:49], v[6:7]
	v_add_f64 v[168:169], v[182:183], -v[194:195]
	v_add_f64 v[6:7], v[184:185], v[196:197]
	v_add_f64 v[241:242], v[241:242], v[249:250]
	;; [unrolled: 1-line block ×4, first 2 shown]
	v_mul_f64 v[182:183], v[170:171], s[18:19]
	v_fma_f64 v[184:185], v[4:5], s[14:15], v[182:183]
	v_fma_f64 v[182:183], v[4:5], s[14:15], -v[182:183]
	v_add_f64 v[10:11], v[184:185], v[10:11]
	v_mul_f64 v[184:185], v[6:7], s[14:15]
	v_add_f64 v[8:9], v[182:183], v[8:9]
	v_fma_f64 v[182:183], v[168:169], s[18:19], v[184:185]
	v_fma_f64 v[194:195], v[168:169], s[22:23], v[184:185]
	v_add_f64 v[12:13], v[182:183], v[12:13]
	v_mul_f64 v[182:183], v[170:171], s[24:25]
	v_add_f64 v[14:15], v[194:195], v[14:15]
	v_fma_f64 v[184:185], v[4:5], s[26:27], v[182:183]
	v_fma_f64 v[182:183], v[4:5], s[26:27], -v[182:183]
	v_add_f64 v[174:175], v[184:185], v[174:175]
	v_mul_f64 v[184:185], v[6:7], s[26:27]
	v_add_f64 v[172:173], v[182:183], v[172:173]
	v_fma_f64 v[182:183], v[168:169], s[24:25], v[184:185]
	v_fma_f64 v[194:195], v[168:169], s[40:41], v[184:185]
	v_add_f64 v[176:177], v[182:183], v[176:177]
	v_mul_f64 v[182:183], v[170:171], s[54:55]
	v_add_f64 v[194:195], v[194:195], v[198:199]
	v_fma_f64 v[184:185], v[4:5], s[52:53], v[182:183]
	v_fma_f64 v[182:183], v[4:5], s[52:53], -v[182:183]
	v_add_f64 v[180:181], v[184:185], v[180:181]
	v_mul_f64 v[184:185], v[6:7], s[52:53]
	v_add_f64 v[178:179], v[182:183], v[178:179]
	v_fma_f64 v[196:197], v[168:169], s[50:51], v[184:185]
	v_fma_f64 v[182:183], v[168:169], s[54:55], v[184:185]
	v_mul_f64 v[184:185], v[170:171], s[16:17]
	v_add_f64 v[196:197], v[196:197], v[202:203]
	v_add_f64 v[182:183], v[182:183], v[200:201]
	v_fma_f64 v[198:199], v[4:5], s[8:9], v[184:185]
	v_fma_f64 v[184:185], v[4:5], s[8:9], -v[184:185]
	v_mul_f64 v[200:201], v[6:7], s[8:9]
	v_add_f64 v[198:199], v[198:199], v[206:207]
	v_add_f64 v[184:185], v[184:185], v[204:205]
	v_mul_f64 v[204:205], v[170:171], s[38:39]
	v_fma_f64 v[202:203], v[168:169], s[6:7], v[200:201]
	v_fma_f64 v[200:201], v[168:169], s[16:17], v[200:201]
	;; [unrolled: 1-line block ×3, first 2 shown]
	v_fma_f64 v[204:205], v[4:5], s[28:29], -v[204:205]
	v_add_f64 v[200:201], v[200:201], v[208:209]
	v_mul_f64 v[208:209], v[6:7], s[28:29]
	v_add_f64 v[202:203], v[202:203], v[210:211]
	v_add_f64 v[206:207], v[206:207], v[214:215]
	;; [unrolled: 1-line block ×3, first 2 shown]
	v_mul_f64 v[212:213], v[170:171], s[46:47]
	v_fma_f64 v[210:211], v[168:169], s[30:31], v[208:209]
	v_fma_f64 v[208:209], v[168:169], s[38:39], v[208:209]
	;; [unrolled: 1-line block ×3, first 2 shown]
	v_fma_f64 v[212:213], v[4:5], s[42:43], -v[212:213]
	v_add_f64 v[208:209], v[208:209], v[216:217]
	v_mul_f64 v[216:217], v[6:7], s[42:43]
	v_add_f64 v[210:211], v[210:211], v[218:219]
	v_add_f64 v[214:215], v[214:215], v[222:223]
	;; [unrolled: 1-line block ×3, first 2 shown]
	v_mul_f64 v[220:221], v[170:171], s[4:5]
	v_fma_f64 v[218:219], v[168:169], s[48:49], v[216:217]
	v_fma_f64 v[216:217], v[168:169], s[46:47], v[216:217]
	v_mul_f64 v[170:171], v[170:171], s[34:35]
	v_fma_f64 v[222:223], v[4:5], s[2:3], v[220:221]
	v_fma_f64 v[220:221], v[4:5], s[2:3], -v[220:221]
	v_add_f64 v[216:217], v[216:217], v[224:225]
	v_mul_f64 v[224:225], v[6:7], s[2:3]
	v_mul_f64 v[6:7], v[6:7], s[36:37]
	v_add_f64 v[218:219], v[218:219], v[226:227]
	v_add_f64 v[222:223], v[222:223], v[230:231]
	;; [unrolled: 1-line block ×3, first 2 shown]
	v_fma_f64 v[228:229], v[4:5], s[36:37], v[170:171]
	v_fma_f64 v[4:5], v[4:5], s[36:37], -v[170:171]
	v_add_f64 v[170:171], v[188:189], -v[192:193]
	v_fma_f64 v[226:227], v[168:169], s[20:21], v[224:225]
	v_fma_f64 v[224:225], v[168:169], s[4:5], v[224:225]
	;; [unrolled: 1-line block ×3, first 2 shown]
	v_add_f64 v[228:229], v[228:229], v[239:240]
	v_add_f64 v[0:1], v[4:5], v[0:1]
	v_fma_f64 v[4:5], v[168:169], s[34:35], v[6:7]
	v_add_f64 v[168:169], v[186:187], -v[190:191]
	v_add_f64 v[6:7], v[188:189], v[192:193]
	v_add_f64 v[224:225], v[224:225], v[233:234]
	;; [unrolled: 1-line block ×6, first 2 shown]
	v_mul_f64 v[186:187], v[170:171], s[4:5]
	v_fma_f64 v[188:189], v[4:5], s[2:3], v[186:187]
	v_fma_f64 v[186:187], v[4:5], s[2:3], -v[186:187]
	v_add_f64 v[10:11], v[188:189], v[10:11]
	v_mul_f64 v[188:189], v[6:7], s[2:3]
	v_add_f64 v[8:9], v[186:187], v[8:9]
	v_fma_f64 v[186:187], v[168:169], s[4:5], v[188:189]
	v_fma_f64 v[190:191], v[168:169], s[20:21], v[188:189]
	v_add_f64 v[12:13], v[186:187], v[12:13]
	v_mul_f64 v[186:187], v[170:171], s[50:51]
	v_add_f64 v[14:15], v[190:191], v[14:15]
	v_fma_f64 v[188:189], v[4:5], s[52:53], v[186:187]
	v_fma_f64 v[186:187], v[4:5], s[52:53], -v[186:187]
	v_add_f64 v[174:175], v[188:189], v[174:175]
	v_mul_f64 v[188:189], v[6:7], s[52:53]
	v_add_f64 v[172:173], v[186:187], v[172:173]
	v_fma_f64 v[186:187], v[168:169], s[50:51], v[188:189]
	v_fma_f64 v[190:191], v[168:169], s[54:55], v[188:189]
	v_add_f64 v[176:177], v[186:187], v[176:177]
	v_mul_f64 v[186:187], v[170:171], s[16:17]
	v_add_f64 v[190:191], v[190:191], v[194:195]
	v_mul_f64 v[194:195], v[6:7], s[42:43]
	v_fma_f64 v[188:189], v[4:5], s[8:9], v[186:187]
	v_fma_f64 v[186:187], v[4:5], s[8:9], -v[186:187]
	v_add_f64 v[180:181], v[188:189], v[180:181]
	v_mul_f64 v[188:189], v[6:7], s[8:9]
	v_add_f64 v[178:179], v[186:187], v[178:179]
	v_fma_f64 v[186:187], v[168:169], s[16:17], v[188:189]
	v_fma_f64 v[192:193], v[168:169], s[6:7], v[188:189]
	v_add_f64 v[182:183], v[186:187], v[182:183]
	v_mul_f64 v[186:187], v[170:171], s[48:49]
	v_add_f64 v[192:193], v[192:193], v[196:197]
	v_fma_f64 v[196:197], v[168:169], s[46:47], v[194:195]
	v_fma_f64 v[188:189], v[4:5], s[42:43], v[186:187]
	v_fma_f64 v[186:187], v[4:5], s[42:43], -v[186:187]
	v_add_f64 v[196:197], v[196:197], v[202:203]
	v_add_f64 v[188:189], v[188:189], v[198:199]
	;; [unrolled: 1-line block ×3, first 2 shown]
	v_fma_f64 v[186:187], v[168:169], s[48:49], v[194:195]
	v_mul_f64 v[194:195], v[170:171], s[18:19]
	v_add_f64 v[186:187], v[186:187], v[200:201]
	v_fma_f64 v[198:199], v[4:5], s[14:15], v[194:195]
	v_fma_f64 v[194:195], v[4:5], s[14:15], -v[194:195]
	v_mul_f64 v[200:201], v[6:7], s[14:15]
	v_add_f64 v[198:199], v[198:199], v[206:207]
	v_add_f64 v[194:195], v[194:195], v[204:205]
	v_mul_f64 v[204:205], v[170:171], s[34:35]
	v_fma_f64 v[202:203], v[168:169], s[22:23], v[200:201]
	v_fma_f64 v[200:201], v[168:169], s[18:19], v[200:201]
	;; [unrolled: 1-line block ×3, first 2 shown]
	v_fma_f64 v[204:205], v[4:5], s[36:37], -v[204:205]
	v_add_f64 v[200:201], v[200:201], v[208:209]
	v_mul_f64 v[208:209], v[6:7], s[36:37]
	v_add_f64 v[202:203], v[202:203], v[210:211]
	v_add_f64 v[206:207], v[206:207], v[214:215]
	;; [unrolled: 1-line block ×3, first 2 shown]
	v_mul_f64 v[212:213], v[170:171], s[40:41]
	v_fma_f64 v[210:211], v[168:169], s[44:45], v[208:209]
	v_fma_f64 v[208:209], v[168:169], s[34:35], v[208:209]
	v_mul_f64 v[170:171], v[170:171], s[38:39]
	v_fma_f64 v[214:215], v[4:5], s[26:27], v[212:213]
	v_fma_f64 v[212:213], v[4:5], s[26:27], -v[212:213]
	v_add_f64 v[208:209], v[208:209], v[216:217]
	v_mul_f64 v[216:217], v[6:7], s[26:27]
	v_mul_f64 v[6:7], v[6:7], s[28:29]
	v_add_f64 v[210:211], v[210:211], v[218:219]
	v_add_f64 v[214:215], v[214:215], v[222:223]
	;; [unrolled: 1-line block ×3, first 2 shown]
	v_fma_f64 v[220:221], v[4:5], s[28:29], v[170:171]
	v_fma_f64 v[4:5], v[4:5], s[28:29], -v[170:171]
	v_fma_f64 v[222:223], v[168:169], s[30:31], v[6:7]
	v_fma_f64 v[218:219], v[168:169], s[24:25], v[216:217]
	;; [unrolled: 1-line block ×3, first 2 shown]
	v_add_f64 v[220:221], v[220:221], v[228:229]
	v_add_f64 v[0:1], v[4:5], v[0:1]
	v_fma_f64 v[4:5], v[168:169], s[38:39], v[6:7]
	v_add_f64 v[6:7], v[162:163], v[166:167]
	v_add_f64 v[162:163], v[162:163], -v[166:167]
	v_add_f64 v[216:217], v[216:217], v[224:225]
	v_add_f64 v[218:219], v[218:219], v[226:227]
	;; [unrolled: 1-line block ×3, first 2 shown]
	v_add_f64 v[224:225], v[146:147], -v[150:151]
	v_add_f64 v[2:3], v[4:5], v[2:3]
	v_add_f64 v[4:5], v[160:161], v[164:165]
	v_add_f64 v[160:161], v[160:161], -v[164:165]
	v_mul_f64 v[164:165], v[162:163], s[6:7]
	v_fma_f64 v[166:167], v[4:5], s[8:9], v[164:165]
	v_fma_f64 v[164:165], v[4:5], s[8:9], -v[164:165]
	v_add_f64 v[10:11], v[166:167], v[10:11]
	v_mul_f64 v[166:167], v[6:7], s[8:9]
	v_add_f64 v[8:9], v[164:165], v[8:9]
	v_fma_f64 v[164:165], v[160:161], s[6:7], v[166:167]
	v_fma_f64 v[168:169], v[160:161], s[16:17], v[166:167]
	v_add_f64 v[12:13], v[164:165], v[12:13]
	v_mul_f64 v[164:165], v[162:163], s[44:45]
	v_add_f64 v[14:15], v[168:169], v[14:15]
	v_mul_f64 v[168:169], v[6:7], s[36:37]
	v_fma_f64 v[166:167], v[4:5], s[36:37], v[164:165]
	v_fma_f64 v[164:165], v[4:5], s[36:37], -v[164:165]
	v_fma_f64 v[170:171], v[160:161], s[34:35], v[168:169]
	v_fma_f64 v[168:169], v[160:161], s[44:45], v[168:169]
	v_add_f64 v[166:167], v[166:167], v[174:175]
	v_add_f64 v[164:165], v[164:165], v[172:173]
	v_mul_f64 v[172:173], v[162:163], s[38:39]
	v_add_f64 v[168:169], v[168:169], v[176:177]
	v_mul_f64 v[176:177], v[6:7], s[28:29]
	v_add_f64 v[170:171], v[170:171], v[190:191]
	v_fma_f64 v[174:175], v[4:5], s[28:29], v[172:173]
	v_fma_f64 v[172:173], v[4:5], s[28:29], -v[172:173]
	v_add_f64 v[174:175], v[174:175], v[180:181]
	v_fma_f64 v[180:181], v[160:161], s[30:31], v[176:177]
	v_add_f64 v[172:173], v[172:173], v[178:179]
	v_fma_f64 v[176:177], v[160:161], s[38:39], v[176:177]
	v_mul_f64 v[178:179], v[162:163], s[18:19]
	v_add_f64 v[180:181], v[180:181], v[192:193]
	v_mul_f64 v[192:193], v[6:7], s[52:53]
	v_add_f64 v[176:177], v[176:177], v[182:183]
	v_fma_f64 v[182:183], v[4:5], s[14:15], v[178:179]
	v_fma_f64 v[178:179], v[4:5], s[14:15], -v[178:179]
	v_add_f64 v[182:183], v[182:183], v[188:189]
	v_mul_f64 v[188:189], v[6:7], s[14:15]
	v_add_f64 v[178:179], v[178:179], v[184:185]
	v_fma_f64 v[184:185], v[160:161], s[18:19], v[188:189]
	v_fma_f64 v[190:191], v[160:161], s[22:23], v[188:189]
	v_add_f64 v[184:185], v[184:185], v[186:187]
	v_mul_f64 v[186:187], v[162:163], s[50:51]
	v_add_f64 v[190:191], v[190:191], v[196:197]
	v_fma_f64 v[196:197], v[160:161], s[54:55], v[192:193]
	v_fma_f64 v[192:193], v[160:161], s[50:51], v[192:193]
	v_fma_f64 v[188:189], v[4:5], s[52:53], v[186:187]
	v_fma_f64 v[186:187], v[4:5], s[52:53], -v[186:187]
	v_add_f64 v[196:197], v[196:197], v[202:203]
	v_add_f64 v[192:193], v[192:193], v[200:201]
	v_mul_f64 v[200:201], v[6:7], s[2:3]
	v_add_f64 v[188:189], v[188:189], v[198:199]
	v_add_f64 v[186:187], v[186:187], v[194:195]
	v_mul_f64 v[194:195], v[162:163], s[20:21]
	v_fma_f64 v[202:203], v[160:161], s[4:5], v[200:201]
	v_fma_f64 v[200:201], v[160:161], s[20:21], v[200:201]
	;; [unrolled: 1-line block ×3, first 2 shown]
	v_fma_f64 v[194:195], v[4:5], s[2:3], -v[194:195]
	v_add_f64 v[202:203], v[202:203], v[210:211]
	v_add_f64 v[200:201], v[200:201], v[208:209]
	v_mul_f64 v[208:209], v[6:7], s[42:43]
	v_mul_f64 v[6:7], v[6:7], s[26:27]
	v_add_f64 v[198:199], v[198:199], v[206:207]
	v_add_f64 v[194:195], v[194:195], v[204:205]
	v_mul_f64 v[204:205], v[162:163], s[46:47]
	v_mul_f64 v[162:163], v[162:163], s[24:25]
	v_fma_f64 v[210:211], v[160:161], s[48:49], v[208:209]
	v_fma_f64 v[208:209], v[160:161], s[46:47], v[208:209]
	;; [unrolled: 1-line block ×3, first 2 shown]
	v_fma_f64 v[204:205], v[4:5], s[42:43], -v[204:205]
	v_add_f64 v[210:211], v[210:211], v[218:219]
	v_add_f64 v[208:209], v[208:209], v[216:217]
	;; [unrolled: 1-line block ×4, first 2 shown]
	v_fma_f64 v[212:213], v[4:5], s[26:27], v[162:163]
	v_fma_f64 v[4:5], v[4:5], s[26:27], -v[162:163]
	v_fma_f64 v[214:215], v[160:161], s[40:41], v[6:7]
	v_add_f64 v[212:213], v[212:213], v[220:221]
	v_add_f64 v[0:1], v[4:5], v[0:1]
	v_fma_f64 v[4:5], v[160:161], s[24:25], v[6:7]
	v_add_f64 v[6:7], v[154:155], v[158:159]
	v_add_f64 v[154:155], v[154:155], -v[158:159]
	v_add_f64 v[214:215], v[214:215], v[222:223]
	v_add_f64 v[222:223], v[144:145], -v[148:149]
	v_add_f64 v[2:3], v[4:5], v[2:3]
	v_add_f64 v[4:5], v[152:153], v[156:157]
	v_add_f64 v[152:153], v[152:153], -v[156:157]
	v_mul_f64 v[156:157], v[154:155], s[24:25]
	v_fma_f64 v[158:159], v[4:5], s[26:27], v[156:157]
	v_fma_f64 v[156:157], v[4:5], s[26:27], -v[156:157]
	v_add_f64 v[10:11], v[158:159], v[10:11]
	v_mul_f64 v[158:159], v[6:7], s[26:27]
	v_add_f64 v[8:9], v[156:157], v[8:9]
	v_fma_f64 v[156:157], v[152:153], s[24:25], v[158:159]
	v_fma_f64 v[160:161], v[152:153], s[40:41], v[158:159]
	v_add_f64 v[12:13], v[156:157], v[12:13]
	v_mul_f64 v[156:157], v[154:155], s[16:17]
	v_add_f64 v[14:15], v[160:161], v[14:15]
	v_mul_f64 v[160:161], v[6:7], s[8:9]
	v_fma_f64 v[158:159], v[4:5], s[8:9], v[156:157]
	v_fma_f64 v[156:157], v[4:5], s[8:9], -v[156:157]
	v_fma_f64 v[162:163], v[152:153], s[6:7], v[160:161]
	v_fma_f64 v[160:161], v[152:153], s[16:17], v[160:161]
	v_add_f64 v[158:159], v[158:159], v[166:167]
	v_add_f64 v[156:157], v[156:157], v[164:165]
	v_mul_f64 v[164:165], v[154:155], s[46:47]
	v_add_f64 v[160:161], v[160:161], v[168:169]
	v_mul_f64 v[168:169], v[6:7], s[42:43]
	v_add_f64 v[162:163], v[162:163], v[170:171]
	v_fma_f64 v[166:167], v[4:5], s[42:43], v[164:165]
	v_fma_f64 v[164:165], v[4:5], s[42:43], -v[164:165]
	v_fma_f64 v[170:171], v[152:153], s[48:49], v[168:169]
	v_fma_f64 v[168:169], v[152:153], s[46:47], v[168:169]
	v_add_f64 v[166:167], v[166:167], v[174:175]
	v_add_f64 v[164:165], v[164:165], v[172:173]
	v_mul_f64 v[172:173], v[154:155], s[34:35]
	v_add_f64 v[168:169], v[168:169], v[176:177]
	v_mul_f64 v[176:177], v[6:7], s[36:37]
	v_add_f64 v[170:171], v[170:171], v[180:181]
	v_fma_f64 v[174:175], v[4:5], s[36:37], v[172:173]
	v_fma_f64 v[172:173], v[4:5], s[36:37], -v[172:173]
	v_fma_f64 v[180:181], v[152:153], s[44:45], v[176:177]
	v_fma_f64 v[176:177], v[152:153], s[34:35], v[176:177]
	v_add_f64 v[174:175], v[174:175], v[182:183]
	v_add_f64 v[172:173], v[172:173], v[178:179]
	v_mul_f64 v[178:179], v[154:155], s[20:21]
	v_add_f64 v[180:181], v[180:181], v[190:191]
	v_add_f64 v[176:177], v[176:177], v[184:185]
	v_mul_f64 v[184:185], v[6:7], s[2:3]
	v_fma_f64 v[182:183], v[4:5], s[2:3], v[178:179]
	v_fma_f64 v[178:179], v[4:5], s[2:3], -v[178:179]
	v_add_f64 v[182:183], v[182:183], v[188:189]
	v_add_f64 v[178:179], v[178:179], v[186:187]
	v_mul_f64 v[186:187], v[154:155], s[30:31]
	v_fma_f64 v[188:189], v[152:153], s[4:5], v[184:185]
	v_fma_f64 v[184:185], v[152:153], s[20:21], v[184:185]
	;; [unrolled: 1-line block ×3, first 2 shown]
	v_fma_f64 v[186:187], v[4:5], s[28:29], -v[186:187]
	v_add_f64 v[184:185], v[184:185], v[192:193]
	v_mul_f64 v[192:193], v[6:7], s[28:29]
	v_add_f64 v[188:189], v[188:189], v[196:197]
	v_add_f64 v[190:191], v[190:191], v[198:199]
	;; [unrolled: 1-line block ×3, first 2 shown]
	v_mul_f64 v[194:195], v[154:155], s[50:51]
	v_mul_f64 v[154:155], v[154:155], s[22:23]
	v_fma_f64 v[196:197], v[152:153], s[38:39], v[192:193]
	v_fma_f64 v[192:193], v[152:153], s[30:31], v[192:193]
	;; [unrolled: 1-line block ×3, first 2 shown]
	v_fma_f64 v[194:195], v[4:5], s[52:53], -v[194:195]
	v_add_f64 v[196:197], v[196:197], v[202:203]
	v_add_f64 v[192:193], v[192:193], v[200:201]
	;; [unrolled: 1-line block ×3, first 2 shown]
	v_mul_f64 v[198:199], v[6:7], s[52:53]
	v_add_f64 v[218:219], v[194:195], v[204:205]
	v_mul_f64 v[6:7], v[6:7], s[14:15]
	v_fma_f64 v[194:195], v[152:153], s[50:51], v[198:199]
	v_fma_f64 v[200:201], v[152:153], s[54:55], v[198:199]
	v_add_f64 v[220:221], v[194:195], v[208:209]
	v_fma_f64 v[194:195], v[4:5], s[14:15], v[154:155]
	v_fma_f64 v[4:5], v[4:5], s[14:15], -v[154:155]
	v_add_f64 v[210:211], v[200:201], v[210:211]
	v_add_f64 v[212:213], v[194:195], v[212:213]
	;; [unrolled: 1-line block ×3, first 2 shown]
	v_fma_f64 v[4:5], v[152:153], s[22:23], v[6:7]
	v_fma_f64 v[194:195], v[152:153], s[18:19], v[6:7]
	v_add_f64 v[6:7], v[146:147], v[150:151]
	v_add_f64 v[2:3], v[4:5], v[2:3]
	;; [unrolled: 1-line block ×3, first 2 shown]
	v_mul_f64 v[144:145], v[224:225], s[34:35]
	v_add_f64 v[214:215], v[194:195], v[214:215]
	v_fma_f64 v[146:147], v[4:5], s[36:37], v[144:145]
	v_add_f64 v[208:209], v[146:147], v[10:11]
	v_mul_f64 v[10:11], v[6:7], s[36:37]
	v_fma_f64 v[146:147], v[222:223], s[44:45], v[10:11]
	v_add_f64 v[202:203], v[146:147], v[14:15]
	v_fma_f64 v[14:15], v[4:5], s[36:37], -v[144:145]
	v_add_f64 v[204:205], v[14:15], v[8:9]
	v_fma_f64 v[8:9], v[222:223], s[34:35], v[10:11]
	v_add_f64 v[206:207], v[8:9], v[12:13]
	v_mul_f64 v[8:9], v[224:225], s[22:23]
	v_fma_f64 v[10:11], v[4:5], s[14:15], v[8:9]
	v_fma_f64 v[8:9], v[4:5], s[14:15], -v[8:9]
	v_add_f64 v[148:149], v[10:11], v[158:159]
	v_mul_f64 v[10:11], v[6:7], s[14:15]
	v_add_f64 v[144:145], v[8:9], v[156:157]
	v_fma_f64 v[8:9], v[222:223], s[22:23], v[10:11]
	v_fma_f64 v[12:13], v[222:223], s[18:19], v[10:11]
	v_add_f64 v[146:147], v[8:9], v[160:161]
	v_mul_f64 v[8:9], v[224:225], s[4:5]
	v_add_f64 v[150:151], v[12:13], v[162:163]
	v_fma_f64 v[10:11], v[4:5], s[2:3], v[8:9]
	v_fma_f64 v[8:9], v[4:5], s[2:3], -v[8:9]
	v_add_f64 v[152:153], v[10:11], v[166:167]
	v_mul_f64 v[10:11], v[6:7], s[2:3]
	v_add_f64 v[156:157], v[8:9], v[164:165]
	v_fma_f64 v[8:9], v[222:223], s[4:5], v[10:11]
	v_fma_f64 v[12:13], v[222:223], s[20:21], v[10:11]
	v_add_f64 v[158:159], v[8:9], v[168:169]
	v_mul_f64 v[8:9], v[224:225], s[40:41]
	v_add_f64 v[154:155], v[12:13], v[170:171]
	;; [unrolled: 10-line block ×5, first 2 shown]
	v_fma_f64 v[10:11], v[4:5], s[28:29], v[8:9]
	v_fma_f64 v[8:9], v[4:5], s[28:29], -v[8:9]
	v_add_f64 v[196:197], v[10:11], v[216:217]
	v_mul_f64 v[10:11], v[6:7], s[28:29]
	v_add_f64 v[192:193], v[8:9], v[218:219]
	v_mul_f64 v[6:7], v[6:7], s[8:9]
	v_add_f64 v[216:217], v[138:139], -v[142:143]
	v_fma_f64 v[8:9], v[222:223], s[38:39], v[10:11]
	v_fma_f64 v[12:13], v[222:223], s[30:31], v[10:11]
	v_add_f64 v[190:191], v[8:9], v[220:221]
	v_mul_f64 v[8:9], v[224:225], s[6:7]
	v_add_f64 v[194:195], v[12:13], v[210:211]
	v_add_f64 v[210:211], v[136:137], -v[140:141]
	v_fma_f64 v[10:11], v[4:5], s[8:9], v[8:9]
	v_fma_f64 v[4:5], v[4:5], s[8:9], -v[8:9]
	v_add_f64 v[188:189], v[10:11], v[212:213]
	v_add_f64 v[184:185], v[4:5], v[0:1]
	v_fma_f64 v[0:1], v[222:223], s[6:7], v[6:7]
	v_fma_f64 v[10:11], v[222:223], s[16:17], v[6:7]
	v_add_f64 v[212:213], v[136:137], v[140:141]
	v_add_f64 v[182:183], v[0:1], v[2:3]
	v_mul_f64 v[0:1], v[216:217], s[50:51]
	v_add_f64 v[186:187], v[10:11], v[214:215]
	v_add_f64 v[214:215], v[138:139], v[142:143]
	v_fma_f64 v[2:3], v[212:213], s[52:53], v[0:1]
	v_fma_f64 v[0:1], v[212:213], s[52:53], -v[0:1]
	v_add_f64 v[140:141], v[2:3], v[208:209]
	v_mul_f64 v[2:3], v[214:215], s[52:53]
	v_add_f64 v[136:137], v[0:1], v[204:205]
	v_fma_f64 v[0:1], v[210:211], s[50:51], v[2:3]
	v_fma_f64 v[4:5], v[210:211], s[54:55], v[2:3]
	v_add_f64 v[138:139], v[0:1], v[206:207]
	v_mul_f64 v[0:1], v[216:217], s[48:49]
	v_add_f64 v[142:143], v[4:5], v[202:203]
	v_fma_f64 v[2:3], v[212:213], s[42:43], v[0:1]
	v_fma_f64 v[0:1], v[212:213], s[42:43], -v[0:1]
	v_add_f64 v[148:149], v[2:3], v[148:149]
	v_mul_f64 v[2:3], v[214:215], s[42:43]
	v_add_f64 v[144:145], v[0:1], v[144:145]
	v_fma_f64 v[0:1], v[210:211], s[48:49], v[2:3]
	v_fma_f64 v[4:5], v[210:211], s[46:47], v[2:3]
	v_add_f64 v[146:147], v[0:1], v[146:147]
	v_mul_f64 v[0:1], v[216:217], s[34:35]
	;; [unrolled: 10-line block ×6, first 2 shown]
	v_add_f64 v[178:179], v[4:5], v[178:179]
	v_fma_f64 v[2:3], v[212:213], s[8:9], v[0:1]
	v_fma_f64 v[0:1], v[212:213], s[8:9], -v[0:1]
	v_add_f64 v[196:197], v[2:3], v[196:197]
	v_mul_f64 v[2:3], v[214:215], s[8:9]
	v_add_f64 v[192:193], v[0:1], v[192:193]
	v_fma_f64 v[4:5], v[210:211], s[16:17], v[2:3]
	v_fma_f64 v[0:1], v[210:211], s[6:7], v[2:3]
	v_add_f64 v[198:199], v[4:5], v[194:195]
	v_add_f64 v[194:195], v[0:1], v[190:191]
	v_mul_f64 v[0:1], v[216:217], s[20:21]
	v_fma_f64 v[2:3], v[212:213], s[2:3], v[0:1]
	v_fma_f64 v[0:1], v[212:213], s[2:3], -v[0:1]
	v_add_f64 v[188:189], v[2:3], v[188:189]
	v_mul_f64 v[2:3], v[214:215], s[2:3]
	v_add_f64 v[184:185], v[0:1], v[184:185]
	v_fma_f64 v[4:5], v[210:211], s[4:5], v[2:3]
	v_fma_f64 v[0:1], v[210:211], s[20:21], v[2:3]
	v_add_f64 v[190:191], v[4:5], v[186:187]
	v_add_f64 v[186:187], v[0:1], v[182:183]
	ds_write_b128 v236, v[132:135]
	ds_write_b128 v236, v[140:143] offset:16
	ds_write_b128 v236, v[148:151] offset:32
	;; [unrolled: 1-line block ×16, first 2 shown]
	s_waitcnt lgkmcnt(0)
	s_barrier
	buffer_gl0_inv
	ds_read_b128 v[132:135], v232
	ds_read_b128 v[136:139], v232 offset:272
	ds_read_b128 v[140:143], v232 offset:544
	;; [unrolled: 1-line block ×16, first 2 shown]
	s_waitcnt lgkmcnt(15)
	v_mul_f64 v[2:3], v[98:99], v[136:137]
	s_waitcnt lgkmcnt(14)
	v_mul_f64 v[4:5], v[78:79], v[142:143]
	v_mul_f64 v[0:1], v[98:99], v[138:139]
	s_waitcnt lgkmcnt(0)
	v_mul_f64 v[6:7], v[114:115], v[206:207]
	v_fma_f64 v[2:3], v[96:97], v[138:139], -v[2:3]
	v_fma_f64 v[148:149], v[76:77], v[140:141], v[4:5]
	v_mul_f64 v[4:5], v[78:79], v[140:141]
	v_fma_f64 v[0:1], v[96:97], v[136:137], v[0:1]
	v_fma_f64 v[6:7], v[112:113], v[208:209], -v[6:7]
	v_add_f64 v[10:11], v[134:135], v[2:3]
	v_fma_f64 v[146:147], v[76:77], v[142:143], -v[4:5]
	v_mul_f64 v[4:5], v[74:75], v[152:153]
	v_add_f64 v[8:9], v[132:133], v[0:1]
	v_add_f64 v[10:11], v[10:11], v[146:147]
	v_fma_f64 v[144:145], v[72:73], v[150:151], v[4:5]
	v_mul_f64 v[4:5], v[74:75], v[150:151]
	v_add_f64 v[8:9], v[8:9], v[148:149]
	v_fma_f64 v[142:143], v[72:73], v[152:153], -v[4:5]
	v_mul_f64 v[4:5], v[70:71], v[156:157]
	v_add_f64 v[8:9], v[8:9], v[144:145]
	v_add_f64 v[10:11], v[10:11], v[142:143]
	v_fma_f64 v[140:141], v[68:69], v[154:155], v[4:5]
	v_mul_f64 v[4:5], v[70:71], v[154:155]
	v_add_f64 v[8:9], v[8:9], v[140:141]
	v_fma_f64 v[138:139], v[68:69], v[156:157], -v[4:5]
	v_mul_f64 v[4:5], v[106:107], v[160:161]
	v_add_f64 v[10:11], v[10:11], v[138:139]
	v_fma_f64 v[136:137], v[104:105], v[158:159], v[4:5]
	v_mul_f64 v[4:5], v[106:107], v[158:159]
	v_add_f64 v[8:9], v[8:9], v[136:137]
	v_fma_f64 v[104:105], v[104:105], v[160:161], -v[4:5]
	v_mul_f64 v[4:5], v[90:91], v[164:165]
	;; [unrolled: 6-line block ×12, first 2 shown]
	v_add_f64 v[10:11], v[10:11], v[110:111]
	v_fma_f64 v[4:5], v[112:113], v[206:207], v[4:5]
	v_add_f64 v[70:71], v[10:11], v[6:7]
	v_add_f64 v[10:11], v[2:3], v[6:7]
	v_add_f64 v[2:3], v[2:3], -v[6:7]
	v_add_f64 v[68:69], v[8:9], v[4:5]
	v_add_f64 v[8:9], v[0:1], v[4:5]
	v_add_f64 v[0:1], v[0:1], -v[4:5]
	v_mul_f64 v[12:13], v[10:11], s[42:43]
	v_mul_f64 v[4:5], v[2:3], s[46:47]
	;; [unrolled: 1-line block ×16, first 2 shown]
	v_fma_f64 v[14:15], v[0:1], s[48:49], v[12:13]
	v_fma_f64 v[6:7], v[8:9], s[42:43], v[4:5]
	v_fma_f64 v[4:5], v[8:9], s[42:43], -v[4:5]
	v_fma_f64 v[12:13], v[0:1], s[46:47], v[12:13]
	v_fma_f64 v[114:115], v[8:9], s[28:29], v[112:113]
	v_fma_f64 v[118:119], v[0:1], s[38:39], v[116:117]
	v_fma_f64 v[112:113], v[8:9], s[28:29], -v[112:113]
	v_fma_f64 v[116:117], v[0:1], s[30:31], v[116:117]
	;; [unrolled: 4-line block ×8, first 2 shown]
	v_add_f64 v[10:11], v[146:147], v[110:111]
	v_add_f64 v[110:111], v[146:147], -v[110:111]
	v_add_f64 v[6:7], v[132:133], v[6:7]
	v_add_f64 v[4:5], v[132:133], v[4:5]
	;; [unrolled: 1-line block ×21, first 2 shown]
	v_mul_f64 v[132:133], v[110:111], s[30:31]
	v_add_f64 v[128:129], v[134:135], v[128:129]
	v_add_f64 v[126:127], v[134:135], v[126:127]
	;; [unrolled: 1-line block ×12, first 2 shown]
	v_add_f64 v[120:121], v[148:149], -v[120:121]
	v_fma_f64 v[134:135], v[8:9], s[28:29], v[132:133]
	v_fma_f64 v[132:133], v[8:9], s[28:29], -v[132:133]
	v_add_f64 v[6:7], v[134:135], v[6:7]
	v_mul_f64 v[134:135], v[10:11], s[28:29]
	v_add_f64 v[4:5], v[132:133], v[4:5]
	v_fma_f64 v[132:133], v[120:121], s[30:31], v[134:135]
	v_fma_f64 v[146:147], v[120:121], s[38:39], v[134:135]
	v_add_f64 v[12:13], v[132:133], v[12:13]
	v_mul_f64 v[132:133], v[110:111], s[4:5]
	v_add_f64 v[14:15], v[146:147], v[14:15]
	v_fma_f64 v[134:135], v[8:9], s[2:3], v[132:133]
	v_fma_f64 v[132:133], v[8:9], s[2:3], -v[132:133]
	v_add_f64 v[114:115], v[134:135], v[114:115]
	v_mul_f64 v[134:135], v[10:11], s[2:3]
	v_add_f64 v[112:113], v[132:133], v[112:113]
	v_fma_f64 v[132:133], v[120:121], s[4:5], v[134:135]
	v_fma_f64 v[146:147], v[120:121], s[20:21], v[134:135]
	v_add_f64 v[116:117], v[132:133], v[116:117]
	v_mul_f64 v[132:133], v[110:111], s[24:25]
	v_add_f64 v[118:119], v[146:147], v[118:119]
	;; [unrolled: 10-line block ×3, first 2 shown]
	v_mul_f64 v[146:147], v[10:11], s[52:53]
	v_fma_f64 v[134:135], v[8:9], s[52:53], v[132:133]
	v_fma_f64 v[132:133], v[8:9], s[52:53], -v[132:133]
	v_fma_f64 v[148:149], v[120:121], s[54:55], v[146:147]
	v_add_f64 v[134:135], v[134:135], v[150:151]
	v_add_f64 v[130:131], v[132:133], v[130:131]
	v_fma_f64 v[132:133], v[120:121], s[50:51], v[146:147]
	v_mul_f64 v[146:147], v[110:111], s[44:45]
	v_add_f64 v[148:149], v[148:149], v[154:155]
	v_add_f64 v[132:133], v[132:133], v[152:153]
	v_fma_f64 v[150:151], v[8:9], s[36:37], v[146:147]
	v_fma_f64 v[146:147], v[8:9], s[36:37], -v[146:147]
	v_mul_f64 v[152:153], v[10:11], s[36:37]
	v_add_f64 v[150:151], v[150:151], v[158:159]
	v_add_f64 v[146:147], v[146:147], v[156:157]
	v_mul_f64 v[156:157], v[110:111], s[16:17]
	v_fma_f64 v[154:155], v[120:121], s[34:35], v[152:153]
	v_fma_f64 v[152:153], v[120:121], s[44:45], v[152:153]
	;; [unrolled: 1-line block ×3, first 2 shown]
	v_fma_f64 v[156:157], v[8:9], s[8:9], -v[156:157]
	v_add_f64 v[152:153], v[152:153], v[160:161]
	v_mul_f64 v[160:161], v[10:11], s[8:9]
	v_add_f64 v[154:155], v[154:155], v[162:163]
	v_add_f64 v[158:159], v[158:159], v[166:167]
	;; [unrolled: 1-line block ×3, first 2 shown]
	v_mul_f64 v[164:165], v[110:111], s[22:23]
	v_fma_f64 v[162:163], v[120:121], s[6:7], v[160:161]
	v_fma_f64 v[160:161], v[120:121], s[16:17], v[160:161]
	v_mul_f64 v[110:111], v[110:111], s[48:49]
	v_fma_f64 v[166:167], v[8:9], s[14:15], v[164:165]
	v_fma_f64 v[164:165], v[8:9], s[14:15], -v[164:165]
	v_add_f64 v[160:161], v[160:161], v[168:169]
	v_mul_f64 v[168:169], v[10:11], s[14:15]
	v_mul_f64 v[10:11], v[10:11], s[42:43]
	v_add_f64 v[162:163], v[162:163], v[170:171]
	v_add_f64 v[166:167], v[166:167], v[174:175]
	v_add_f64 v[164:165], v[164:165], v[172:173]
	v_fma_f64 v[172:173], v[8:9], s[42:43], v[110:111]
	v_fma_f64 v[8:9], v[8:9], s[42:43], -v[110:111]
	v_fma_f64 v[174:175], v[120:121], s[46:47], v[10:11]
	v_fma_f64 v[170:171], v[120:121], s[18:19], v[168:169]
	v_fma_f64 v[168:169], v[120:121], s[22:23], v[168:169]
	v_add_f64 v[172:173], v[172:173], v[180:181]
	v_add_f64 v[2:3], v[8:9], v[2:3]
	v_fma_f64 v[8:9], v[120:121], s[48:49], v[10:11]
	v_add_f64 v[10:11], v[142:143], v[106:107]
	v_add_f64 v[106:107], v[142:143], -v[106:107]
	v_add_f64 v[168:169], v[168:169], v[176:177]
	v_add_f64 v[170:171], v[170:171], v[178:179]
	;; [unrolled: 1-line block ×5, first 2 shown]
	v_mul_f64 v[110:111], v[106:107], s[18:19]
	v_add_f64 v[108:109], v[144:145], -v[108:109]
	v_mul_f64 v[144:145], v[10:11], s[28:29]
	v_fma_f64 v[120:121], v[8:9], s[14:15], v[110:111]
	v_fma_f64 v[110:111], v[8:9], s[14:15], -v[110:111]
	v_add_f64 v[6:7], v[120:121], v[6:7]
	v_mul_f64 v[120:121], v[10:11], s[14:15]
	v_add_f64 v[4:5], v[110:111], v[4:5]
	v_fma_f64 v[110:111], v[108:109], s[18:19], v[120:121]
	v_fma_f64 v[142:143], v[108:109], s[22:23], v[120:121]
	v_add_f64 v[12:13], v[110:111], v[12:13]
	v_mul_f64 v[110:111], v[106:107], s[24:25]
	v_add_f64 v[14:15], v[142:143], v[14:15]
	v_fma_f64 v[120:121], v[8:9], s[26:27], v[110:111]
	v_fma_f64 v[110:111], v[8:9], s[26:27], -v[110:111]
	v_add_f64 v[114:115], v[120:121], v[114:115]
	v_mul_f64 v[120:121], v[10:11], s[26:27]
	v_add_f64 v[110:111], v[110:111], v[112:113]
	v_fma_f64 v[112:113], v[108:109], s[24:25], v[120:121]
	v_fma_f64 v[142:143], v[108:109], s[40:41], v[120:121]
	v_add_f64 v[112:113], v[112:113], v[116:117]
	v_mul_f64 v[116:117], v[106:107], s[54:55]
	v_add_f64 v[118:119], v[142:143], v[118:119]
	v_fma_f64 v[120:121], v[8:9], s[52:53], v[116:117]
	v_fma_f64 v[116:117], v[8:9], s[52:53], -v[116:117]
	v_add_f64 v[120:121], v[120:121], v[124:125]
	v_mul_f64 v[124:125], v[10:11], s[52:53]
	v_add_f64 v[116:117], v[116:117], v[122:123]
	v_fma_f64 v[142:143], v[108:109], s[50:51], v[124:125]
	v_fma_f64 v[122:123], v[108:109], s[54:55], v[124:125]
	v_mul_f64 v[124:125], v[106:107], s[16:17]
	v_add_f64 v[128:129], v[142:143], v[128:129]
	v_add_f64 v[122:123], v[122:123], v[126:127]
	v_fma_f64 v[126:127], v[8:9], s[8:9], v[124:125]
	v_fma_f64 v[124:125], v[8:9], s[8:9], -v[124:125]
	v_add_f64 v[126:127], v[126:127], v[134:135]
	v_mul_f64 v[134:135], v[10:11], s[8:9]
	v_add_f64 v[124:125], v[124:125], v[130:131]
	v_fma_f64 v[130:131], v[108:109], s[16:17], v[134:135]
	v_fma_f64 v[142:143], v[108:109], s[6:7], v[134:135]
	v_add_f64 v[130:131], v[130:131], v[132:133]
	v_mul_f64 v[132:133], v[106:107], s[38:39]
	v_add_f64 v[142:143], v[142:143], v[148:149]
	v_fma_f64 v[148:149], v[108:109], s[30:31], v[144:145]
	v_fma_f64 v[144:145], v[108:109], s[38:39], v[144:145]
	;; [unrolled: 1-line block ×3, first 2 shown]
	v_fma_f64 v[132:133], v[8:9], s[28:29], -v[132:133]
	v_add_f64 v[148:149], v[148:149], v[154:155]
	v_add_f64 v[144:145], v[144:145], v[152:153]
	v_mul_f64 v[152:153], v[10:11], s[42:43]
	v_add_f64 v[134:135], v[134:135], v[150:151]
	v_add_f64 v[132:133], v[132:133], v[146:147]
	v_mul_f64 v[146:147], v[106:107], s[46:47]
	v_fma_f64 v[154:155], v[108:109], s[48:49], v[152:153]
	v_fma_f64 v[152:153], v[108:109], s[46:47], v[152:153]
	;; [unrolled: 1-line block ×3, first 2 shown]
	v_fma_f64 v[146:147], v[8:9], s[42:43], -v[146:147]
	v_add_f64 v[154:155], v[154:155], v[162:163]
	v_add_f64 v[152:153], v[152:153], v[160:161]
	v_mul_f64 v[160:161], v[10:11], s[2:3]
	v_mul_f64 v[10:11], v[10:11], s[36:37]
	v_add_f64 v[150:151], v[150:151], v[158:159]
	v_add_f64 v[146:147], v[146:147], v[156:157]
	v_mul_f64 v[156:157], v[106:107], s[4:5]
	v_mul_f64 v[106:107], v[106:107], s[34:35]
	v_fma_f64 v[162:163], v[108:109], s[20:21], v[160:161]
	v_fma_f64 v[160:161], v[108:109], s[4:5], v[160:161]
	v_fma_f64 v[158:159], v[8:9], s[2:3], v[156:157]
	v_fma_f64 v[156:157], v[8:9], s[2:3], -v[156:157]
	v_add_f64 v[162:163], v[162:163], v[170:171]
	v_add_f64 v[160:161], v[160:161], v[168:169]
	;; [unrolled: 1-line block ×4, first 2 shown]
	v_fma_f64 v[164:165], v[8:9], s[36:37], v[106:107]
	v_fma_f64 v[8:9], v[8:9], s[36:37], -v[106:107]
	v_fma_f64 v[166:167], v[108:109], s[44:45], v[10:11]
	v_add_f64 v[164:165], v[164:165], v[172:173]
	v_add_f64 v[2:3], v[8:9], v[2:3]
	v_fma_f64 v[8:9], v[108:109], s[34:35], v[10:11]
	v_add_f64 v[10:11], v[138:139], v[94:95]
	v_add_f64 v[94:95], v[138:139], -v[94:95]
	v_add_f64 v[166:167], v[166:167], v[174:175]
	v_add_f64 v[0:1], v[8:9], v[0:1]
	;; [unrolled: 1-line block ×3, first 2 shown]
	v_mul_f64 v[106:107], v[94:95], s[4:5]
	v_add_f64 v[102:103], v[140:141], -v[102:103]
	v_fma_f64 v[108:109], v[8:9], s[2:3], v[106:107]
	v_fma_f64 v[106:107], v[8:9], s[2:3], -v[106:107]
	v_add_f64 v[6:7], v[108:109], v[6:7]
	v_mul_f64 v[108:109], v[10:11], s[2:3]
	v_add_f64 v[4:5], v[106:107], v[4:5]
	v_fma_f64 v[106:107], v[102:103], s[4:5], v[108:109]
	v_fma_f64 v[138:139], v[102:103], s[20:21], v[108:109]
	v_add_f64 v[12:13], v[106:107], v[12:13]
	v_mul_f64 v[106:107], v[94:95], s[50:51]
	v_add_f64 v[14:15], v[138:139], v[14:15]
	v_fma_f64 v[108:109], v[8:9], s[52:53], v[106:107]
	v_fma_f64 v[106:107], v[8:9], s[52:53], -v[106:107]
	v_add_f64 v[108:109], v[108:109], v[114:115]
	v_mul_f64 v[114:115], v[10:11], s[52:53]
	v_add_f64 v[106:107], v[106:107], v[110:111]
	v_fma_f64 v[110:111], v[102:103], s[50:51], v[114:115]
	v_fma_f64 v[138:139], v[102:103], s[54:55], v[114:115]
	v_add_f64 v[110:111], v[110:111], v[112:113]
	v_mul_f64 v[112:113], v[94:95], s[16:17]
	v_add_f64 v[118:119], v[138:139], v[118:119]
	v_fma_f64 v[114:115], v[8:9], s[8:9], v[112:113]
	v_fma_f64 v[112:113], v[8:9], s[8:9], -v[112:113]
	v_add_f64 v[114:115], v[114:115], v[120:121]
	v_mul_f64 v[120:121], v[10:11], s[8:9]
	v_add_f64 v[112:113], v[112:113], v[116:117]
	v_fma_f64 v[138:139], v[102:103], s[6:7], v[120:121]
	v_fma_f64 v[116:117], v[102:103], s[16:17], v[120:121]
	v_mul_f64 v[120:121], v[94:95], s[48:49]
	v_add_f64 v[128:129], v[138:139], v[128:129]
	v_add_f64 v[116:117], v[116:117], v[122:123]
	v_fma_f64 v[122:123], v[8:9], s[42:43], v[120:121]
	v_fma_f64 v[120:121], v[8:9], s[42:43], -v[120:121]
	v_add_f64 v[122:123], v[122:123], v[126:127]
	v_mul_f64 v[126:127], v[10:11], s[42:43]
	v_add_f64 v[120:121], v[120:121], v[124:125]
	v_fma_f64 v[138:139], v[102:103], s[46:47], v[126:127]
	v_fma_f64 v[124:125], v[102:103], s[48:49], v[126:127]
	v_mul_f64 v[126:127], v[94:95], s[18:19]
	v_add_f64 v[138:139], v[138:139], v[142:143]
	;; [unrolled: 10-line block ×3, first 2 shown]
	v_add_f64 v[132:133], v[132:133], v[144:145]
	v_fma_f64 v[142:143], v[8:9], s[36:37], v[134:135]
	v_fma_f64 v[134:135], v[8:9], s[36:37], -v[134:135]
	v_mul_f64 v[144:145], v[10:11], s[36:37]
	v_add_f64 v[142:143], v[142:143], v[150:151]
	v_add_f64 v[134:135], v[134:135], v[146:147]
	v_mul_f64 v[146:147], v[94:95], s[40:41]
	v_fma_f64 v[148:149], v[102:103], s[44:45], v[144:145]
	v_fma_f64 v[144:145], v[102:103], s[34:35], v[144:145]
	v_mul_f64 v[94:95], v[94:95], s[38:39]
	v_fma_f64 v[150:151], v[8:9], s[26:27], v[146:147]
	v_fma_f64 v[146:147], v[8:9], s[26:27], -v[146:147]
	v_add_f64 v[144:145], v[144:145], v[152:153]
	v_mul_f64 v[152:153], v[10:11], s[26:27]
	v_mul_f64 v[10:11], v[10:11], s[28:29]
	v_add_f64 v[148:149], v[148:149], v[154:155]
	v_add_f64 v[150:151], v[150:151], v[158:159]
	v_add_f64 v[146:147], v[146:147], v[156:157]
	v_fma_f64 v[156:157], v[8:9], s[28:29], v[94:95]
	v_fma_f64 v[8:9], v[8:9], s[28:29], -v[94:95]
	v_fma_f64 v[158:159], v[102:103], s[30:31], v[10:11]
	v_add_f64 v[94:95], v[136:137], -v[100:101]
	v_fma_f64 v[154:155], v[102:103], s[24:25], v[152:153]
	v_fma_f64 v[152:153], v[102:103], s[40:41], v[152:153]
	v_add_f64 v[156:157], v[156:157], v[164:165]
	v_add_f64 v[2:3], v[8:9], v[2:3]
	v_fma_f64 v[8:9], v[102:103], s[38:39], v[10:11]
	v_add_f64 v[10:11], v[104:105], v[92:93]
	v_add_f64 v[92:93], v[104:105], -v[92:93]
	v_add_f64 v[152:153], v[152:153], v[160:161]
	v_add_f64 v[154:155], v[154:155], v[162:163]
	v_add_f64 v[158:159], v[158:159], v[166:167]
	v_add_f64 v[0:1], v[8:9], v[0:1]
	v_add_f64 v[8:9], v[136:137], v[100:101]
	v_mul_f64 v[100:101], v[92:93], s[6:7]
	v_fma_f64 v[102:103], v[8:9], s[8:9], v[100:101]
	v_fma_f64 v[100:101], v[8:9], s[8:9], -v[100:101]
	v_add_f64 v[6:7], v[102:103], v[6:7]
	v_mul_f64 v[102:103], v[10:11], s[8:9]
	v_add_f64 v[4:5], v[100:101], v[4:5]
	v_fma_f64 v[100:101], v[94:95], s[6:7], v[102:103]
	v_fma_f64 v[104:105], v[94:95], s[16:17], v[102:103]
	v_add_f64 v[12:13], v[100:101], v[12:13]
	v_mul_f64 v[100:101], v[92:93], s[44:45]
	v_add_f64 v[14:15], v[104:105], v[14:15]
	v_mul_f64 v[104:105], v[10:11], s[36:37]
	v_fma_f64 v[102:103], v[8:9], s[36:37], v[100:101]
	v_fma_f64 v[100:101], v[8:9], s[36:37], -v[100:101]
	v_add_f64 v[102:103], v[102:103], v[108:109]
	v_fma_f64 v[108:109], v[94:95], s[34:35], v[104:105]
	v_add_f64 v[100:101], v[100:101], v[106:107]
	v_fma_f64 v[104:105], v[94:95], s[44:45], v[104:105]
	v_mul_f64 v[106:107], v[92:93], s[38:39]
	v_add_f64 v[108:109], v[108:109], v[118:119]
	v_add_f64 v[104:105], v[104:105], v[110:111]
	v_fma_f64 v[110:111], v[8:9], s[28:29], v[106:107]
	v_fma_f64 v[106:107], v[8:9], s[28:29], -v[106:107]
	v_add_f64 v[110:111], v[110:111], v[114:115]
	v_mul_f64 v[114:115], v[10:11], s[28:29]
	v_add_f64 v[106:107], v[106:107], v[112:113]
	v_fma_f64 v[118:119], v[94:95], s[30:31], v[114:115]
	v_fma_f64 v[112:113], v[94:95], s[38:39], v[114:115]
	v_mul_f64 v[114:115], v[92:93], s[18:19]
	v_add_f64 v[118:119], v[118:119], v[128:129]
	v_add_f64 v[112:113], v[112:113], v[116:117]
	v_fma_f64 v[116:117], v[8:9], s[14:15], v[114:115]
	v_fma_f64 v[114:115], v[8:9], s[14:15], -v[114:115]
	v_add_f64 v[116:117], v[116:117], v[122:123]
	v_mul_f64 v[122:123], v[10:11], s[14:15]
	v_add_f64 v[114:115], v[114:115], v[120:121]
	v_fma_f64 v[128:129], v[94:95], s[22:23], v[122:123]
	v_fma_f64 v[120:121], v[94:95], s[18:19], v[122:123]
	v_mul_f64 v[122:123], v[92:93], s[50:51]
	v_add_f64 v[128:129], v[128:129], v[138:139]
	v_add_f64 v[120:121], v[120:121], v[124:125]
	v_fma_f64 v[124:125], v[8:9], s[52:53], v[122:123]
	v_fma_f64 v[122:123], v[8:9], s[52:53], -v[122:123]
	v_mul_f64 v[138:139], v[10:11], s[2:3]
	v_add_f64 v[124:125], v[124:125], v[130:131]
	v_mul_f64 v[130:131], v[10:11], s[52:53]
	v_add_f64 v[122:123], v[122:123], v[126:127]
	v_fma_f64 v[136:137], v[94:95], s[54:55], v[130:131]
	v_fma_f64 v[126:127], v[94:95], s[50:51], v[130:131]
	v_mul_f64 v[130:131], v[92:93], s[20:21]
	v_add_f64 v[136:137], v[136:137], v[140:141]
	v_add_f64 v[126:127], v[126:127], v[132:133]
	v_fma_f64 v[132:133], v[8:9], s[2:3], v[130:131]
	v_fma_f64 v[130:131], v[8:9], s[2:3], -v[130:131]
	v_fma_f64 v[140:141], v[94:95], s[4:5], v[138:139]
	v_add_f64 v[132:133], v[132:133], v[142:143]
	v_add_f64 v[130:131], v[130:131], v[134:135]
	v_fma_f64 v[134:135], v[94:95], s[20:21], v[138:139]
	v_mul_f64 v[138:139], v[92:93], s[46:47]
	v_mul_f64 v[92:93], v[92:93], s[24:25]
	v_add_f64 v[140:141], v[140:141], v[148:149]
	v_add_f64 v[134:135], v[134:135], v[144:145]
	v_fma_f64 v[142:143], v[8:9], s[42:43], v[138:139]
	v_fma_f64 v[138:139], v[8:9], s[42:43], -v[138:139]
	v_mul_f64 v[144:145], v[10:11], s[42:43]
	v_mul_f64 v[10:11], v[10:11], s[26:27]
	v_add_f64 v[142:143], v[142:143], v[150:151]
	v_add_f64 v[138:139], v[138:139], v[146:147]
	v_fma_f64 v[146:147], v[8:9], s[26:27], v[92:93]
	v_fma_f64 v[8:9], v[8:9], s[26:27], -v[92:93]
	v_fma_f64 v[150:151], v[94:95], s[40:41], v[10:11]
	v_fma_f64 v[148:149], v[94:95], s[48:49], v[144:145]
	;; [unrolled: 1-line block ×3, first 2 shown]
	v_add_f64 v[92:93], v[96:97], -v[98:99]
	v_add_f64 v[146:147], v[146:147], v[156:157]
	v_add_f64 v[2:3], v[8:9], v[2:3]
	v_fma_f64 v[8:9], v[94:95], s[24:25], v[10:11]
	v_add_f64 v[10:11], v[90:91], v[86:87]
	v_add_f64 v[86:87], v[90:91], -v[86:87]
	v_add_f64 v[144:145], v[144:145], v[152:153]
	v_add_f64 v[148:149], v[148:149], v[154:155]
	;; [unrolled: 1-line block ×5, first 2 shown]
	v_mul_f64 v[90:91], v[86:87], s[24:25]
	v_fma_f64 v[94:95], v[8:9], s[26:27], v[90:91]
	v_fma_f64 v[90:91], v[8:9], s[26:27], -v[90:91]
	v_add_f64 v[6:7], v[94:95], v[6:7]
	v_mul_f64 v[94:95], v[10:11], s[26:27]
	v_add_f64 v[4:5], v[90:91], v[4:5]
	v_fma_f64 v[90:91], v[92:93], s[24:25], v[94:95]
	v_fma_f64 v[96:97], v[92:93], s[40:41], v[94:95]
	v_add_f64 v[12:13], v[90:91], v[12:13]
	v_mul_f64 v[90:91], v[86:87], s[16:17]
	v_add_f64 v[14:15], v[96:97], v[14:15]
	v_mul_f64 v[96:97], v[10:11], s[8:9]
	v_fma_f64 v[94:95], v[8:9], s[8:9], v[90:91]
	v_fma_f64 v[90:91], v[8:9], s[8:9], -v[90:91]
	v_fma_f64 v[98:99], v[92:93], s[6:7], v[96:97]
	v_fma_f64 v[96:97], v[92:93], s[16:17], v[96:97]
	v_add_f64 v[94:95], v[94:95], v[102:103]
	v_add_f64 v[90:91], v[90:91], v[100:101]
	v_mul_f64 v[100:101], v[86:87], s[46:47]
	v_add_f64 v[96:97], v[96:97], v[104:105]
	v_mul_f64 v[104:105], v[10:11], s[42:43]
	v_add_f64 v[98:99], v[98:99], v[108:109]
	v_fma_f64 v[102:103], v[8:9], s[42:43], v[100:101]
	v_fma_f64 v[100:101], v[8:9], s[42:43], -v[100:101]
	v_fma_f64 v[108:109], v[92:93], s[48:49], v[104:105]
	v_fma_f64 v[104:105], v[92:93], s[46:47], v[104:105]
	v_add_f64 v[102:103], v[102:103], v[110:111]
	v_add_f64 v[100:101], v[100:101], v[106:107]
	v_mul_f64 v[106:107], v[86:87], s[34:35]
	v_add_f64 v[104:105], v[104:105], v[112:113]
	v_mul_f64 v[112:113], v[10:11], s[36:37]
	v_add_f64 v[108:109], v[108:109], v[118:119]
	v_fma_f64 v[110:111], v[8:9], s[36:37], v[106:107]
	v_fma_f64 v[106:107], v[8:9], s[36:37], -v[106:107]
	v_add_f64 v[110:111], v[110:111], v[116:117]
	v_fma_f64 v[116:117], v[92:93], s[44:45], v[112:113]
	v_add_f64 v[106:107], v[106:107], v[114:115]
	v_fma_f64 v[112:113], v[92:93], s[34:35], v[112:113]
	v_mul_f64 v[114:115], v[86:87], s[20:21]
	v_add_f64 v[116:117], v[116:117], v[128:129]
	v_mul_f64 v[128:129], v[10:11], s[28:29]
	v_add_f64 v[112:113], v[112:113], v[120:121]
	v_fma_f64 v[118:119], v[8:9], s[2:3], v[114:115]
	v_mul_f64 v[120:121], v[10:11], s[2:3]
	v_fma_f64 v[114:115], v[8:9], s[2:3], -v[114:115]
	v_add_f64 v[118:119], v[118:119], v[124:125]
	v_fma_f64 v[124:125], v[92:93], s[4:5], v[120:121]
	v_add_f64 v[114:115], v[114:115], v[122:123]
	v_fma_f64 v[120:121], v[92:93], s[20:21], v[120:121]
	v_mul_f64 v[122:123], v[86:87], s[30:31]
	v_add_f64 v[124:125], v[124:125], v[136:137]
	v_mul_f64 v[136:137], v[10:11], s[52:53]
	v_add_f64 v[120:121], v[120:121], v[126:127]
	v_fma_f64 v[126:127], v[8:9], s[28:29], v[122:123]
	v_fma_f64 v[122:123], v[8:9], s[28:29], -v[122:123]
	v_mul_f64 v[10:11], v[10:11], s[14:15]
	v_add_f64 v[126:127], v[126:127], v[132:133]
	v_fma_f64 v[132:133], v[92:93], s[38:39], v[128:129]
	v_add_f64 v[122:123], v[122:123], v[130:131]
	v_fma_f64 v[128:129], v[92:93], s[30:31], v[128:129]
	v_mul_f64 v[130:131], v[86:87], s[50:51]
	v_mul_f64 v[86:87], v[86:87], s[22:23]
	v_add_f64 v[132:133], v[132:133], v[140:141]
	v_fma_f64 v[140:141], v[92:93], s[54:55], v[136:137]
	v_fma_f64 v[136:137], v[92:93], s[50:51], v[136:137]
	v_add_f64 v[128:129], v[128:129], v[134:135]
	v_fma_f64 v[134:135], v[8:9], s[52:53], v[130:131]
	v_fma_f64 v[130:131], v[8:9], s[52:53], -v[130:131]
	v_add_f64 v[144:145], v[136:137], v[144:145]
	v_fma_f64 v[136:137], v[8:9], s[14:15], v[86:87]
	v_fma_f64 v[8:9], v[8:9], s[14:15], -v[86:87]
	v_add_f64 v[86:87], v[88:89], -v[82:83]
	v_add_f64 v[134:135], v[134:135], v[142:143]
	v_add_f64 v[142:143], v[140:141], v[148:149]
	;; [unrolled: 1-line block ×4, first 2 shown]
	v_fma_f64 v[136:137], v[92:93], s[18:19], v[10:11]
	v_add_f64 v[2:3], v[8:9], v[2:3]
	v_fma_f64 v[8:9], v[92:93], s[22:23], v[10:11]
	v_add_f64 v[10:11], v[84:85], v[80:81]
	v_add_f64 v[84:85], v[84:85], -v[80:81]
	v_add_f64 v[148:149], v[136:137], v[150:151]
	v_add_f64 v[0:1], v[8:9], v[0:1]
	;; [unrolled: 1-line block ×3, first 2 shown]
	v_mul_f64 v[80:81], v[84:85], s[34:35]
	v_mul_f64 v[92:93], v[84:85], s[4:5]
	v_fma_f64 v[82:83], v[8:9], s[36:37], v[80:81]
	v_fma_f64 v[80:81], v[8:9], s[36:37], -v[80:81]
	v_add_f64 v[6:7], v[82:83], v[6:7]
	v_mul_f64 v[82:83], v[10:11], s[36:37]
	v_add_f64 v[4:5], v[80:81], v[4:5]
	v_fma_f64 v[80:81], v[86:87], s[34:35], v[82:83]
	v_fma_f64 v[88:89], v[86:87], s[44:45], v[82:83]
	v_add_f64 v[12:13], v[80:81], v[12:13]
	v_mul_f64 v[80:81], v[84:85], s[22:23]
	v_add_f64 v[14:15], v[88:89], v[14:15]
	v_fma_f64 v[82:83], v[8:9], s[14:15], v[80:81]
	v_fma_f64 v[80:81], v[8:9], s[14:15], -v[80:81]
	v_add_f64 v[150:151], v[82:83], v[94:95]
	v_mul_f64 v[82:83], v[10:11], s[14:15]
	v_mul_f64 v[94:95], v[10:11], s[2:3]
	v_add_f64 v[80:81], v[80:81], v[90:91]
	v_fma_f64 v[88:89], v[86:87], s[18:19], v[82:83]
	v_fma_f64 v[90:91], v[86:87], s[20:21], v[94:95]
	;; [unrolled: 1-line block ×4, first 2 shown]
	v_add_f64 v[152:153], v[88:89], v[98:99]
	v_fma_f64 v[88:89], v[8:9], s[2:3], v[92:93]
	v_add_f64 v[90:91], v[90:91], v[108:109]
	v_mul_f64 v[108:109], v[84:85], s[46:47]
	v_add_f64 v[94:95], v[94:95], v[104:105]
	v_fma_f64 v[92:93], v[8:9], s[2:3], -v[92:93]
	v_add_f64 v[82:83], v[82:83], v[96:97]
	v_add_f64 v[88:89], v[88:89], v[102:103]
	v_mul_f64 v[102:103], v[10:11], s[26:27]
	v_fma_f64 v[104:105], v[8:9], s[42:43], v[108:109]
	v_fma_f64 v[108:109], v[8:9], s[42:43], -v[108:109]
	v_add_f64 v[92:93], v[92:93], v[100:101]
	v_mul_f64 v[100:101], v[84:85], s[40:41]
	v_fma_f64 v[98:99], v[86:87], s[24:25], v[102:103]
	v_fma_f64 v[102:103], v[86:87], s[40:41], v[102:103]
	v_add_f64 v[104:105], v[104:105], v[118:119]
	v_mul_f64 v[118:119], v[10:11], s[52:53]
	v_fma_f64 v[96:97], v[8:9], s[26:27], v[100:101]
	v_add_f64 v[108:109], v[108:109], v[114:115]
	v_fma_f64 v[100:101], v[8:9], s[26:27], -v[100:101]
	v_add_f64 v[98:99], v[98:99], v[116:117]
	v_mul_f64 v[116:117], v[84:85], s[50:51]
	v_add_f64 v[102:103], v[102:103], v[112:113]
	v_fma_f64 v[114:115], v[86:87], s[54:55], v[118:119]
	v_add_f64 v[96:97], v[96:97], v[110:111]
	v_mul_f64 v[110:111], v[10:11], s[42:43]
	v_add_f64 v[100:101], v[100:101], v[106:107]
	v_fma_f64 v[112:113], v[8:9], s[52:53], v[116:117]
	v_fma_f64 v[116:117], v[8:9], s[52:53], -v[116:117]
	v_add_f64 v[114:115], v[114:115], v[132:133]
	v_fma_f64 v[106:107], v[86:87], s[48:49], v[110:111]
	v_fma_f64 v[110:111], v[86:87], s[46:47], v[110:111]
	v_add_f64 v[112:113], v[112:113], v[126:127]
	v_add_f64 v[140:141], v[116:117], v[122:123]
	v_fma_f64 v[116:117], v[86:87], s[50:51], v[118:119]
	v_add_f64 v[122:123], v[76:77], v[78:79]
	v_add_f64 v[106:107], v[106:107], v[124:125]
	;; [unrolled: 1-line block ×4, first 2 shown]
	v_mul_f64 v[116:117], v[84:85], s[38:39]
	v_mul_f64 v[84:85], v[84:85], s[6:7]
	v_add_f64 v[128:129], v[72:73], v[74:75]
	v_fma_f64 v[118:119], v[8:9], s[28:29], v[116:117]
	v_fma_f64 v[116:117], v[8:9], s[28:29], -v[116:117]
	v_add_f64 v[136:137], v[118:119], v[134:135]
	v_mul_f64 v[118:119], v[10:11], s[28:29]
	v_add_f64 v[132:133], v[116:117], v[130:131]
	v_mul_f64 v[10:11], v[10:11], s[8:9]
	v_fma_f64 v[116:117], v[86:87], s[38:39], v[118:119]
	v_fma_f64 v[120:121], v[86:87], s[30:31], v[118:119]
	v_add_f64 v[118:119], v[76:77], -v[78:79]
	v_add_f64 v[130:131], v[116:117], v[144:145]
	v_fma_f64 v[116:117], v[8:9], s[8:9], v[84:85]
	v_fma_f64 v[8:9], v[8:9], s[8:9], -v[84:85]
	v_add_f64 v[134:135], v[120:121], v[142:143]
	v_add_f64 v[142:143], v[72:73], -v[74:75]
	v_add_f64 v[126:127], v[116:117], v[146:147]
	v_fma_f64 v[116:117], v[86:87], s[16:17], v[10:11]
	v_add_f64 v[120:121], v[8:9], v[2:3]
	v_fma_f64 v[2:3], v[86:87], s[6:7], v[10:11]
	v_add_f64 v[124:125], v[116:117], v[148:149]
	v_add_f64 v[116:117], v[2:3], v[0:1]
	v_mul_f64 v[0:1], v[142:143], s[50:51]
	v_fma_f64 v[2:3], v[122:123], s[52:53], v[0:1]
	v_fma_f64 v[0:1], v[122:123], s[52:53], -v[0:1]
	v_add_f64 v[76:77], v[2:3], v[6:7]
	v_mul_f64 v[2:3], v[128:129], s[52:53]
	v_add_f64 v[72:73], v[0:1], v[4:5]
	v_fma_f64 v[0:1], v[118:119], s[50:51], v[2:3]
	v_fma_f64 v[6:7], v[118:119], s[54:55], v[2:3]
	v_add_f64 v[74:75], v[0:1], v[12:13]
	v_mul_f64 v[0:1], v[142:143], s[48:49]
	v_add_f64 v[78:79], v[6:7], v[14:15]
	v_fma_f64 v[2:3], v[122:123], s[42:43], v[0:1]
	v_fma_f64 v[0:1], v[122:123], s[42:43], -v[0:1]
	v_add_f64 v[84:85], v[2:3], v[150:151]
	v_mul_f64 v[2:3], v[128:129], s[42:43]
	v_add_f64 v[80:81], v[0:1], v[80:81]
	v_fma_f64 v[0:1], v[118:119], s[48:49], v[2:3]
	v_fma_f64 v[4:5], v[118:119], s[46:47], v[2:3]
	v_add_f64 v[82:83], v[0:1], v[82:83]
	v_mul_f64 v[0:1], v[142:143], s[34:35]
	v_add_f64 v[86:87], v[4:5], v[152:153]
	;; [unrolled: 10-line block ×6, first 2 shown]
	v_fma_f64 v[2:3], v[122:123], s[8:9], v[0:1]
	v_fma_f64 v[0:1], v[122:123], s[8:9], -v[0:1]
	v_add_f64 v[136:137], v[2:3], v[136:137]
	v_mul_f64 v[2:3], v[128:129], s[8:9]
	v_add_f64 v[132:133], v[0:1], v[132:133]
	v_fma_f64 v[4:5], v[118:119], s[16:17], v[2:3]
	v_fma_f64 v[0:1], v[118:119], s[6:7], v[2:3]
	v_add_f64 v[138:139], v[4:5], v[134:135]
	v_add_f64 v[134:135], v[0:1], v[130:131]
	v_mul_f64 v[0:1], v[142:143], s[20:21]
	v_fma_f64 v[2:3], v[122:123], s[2:3], v[0:1]
	v_fma_f64 v[0:1], v[122:123], s[2:3], -v[0:1]
	v_add_f64 v[126:127], v[2:3], v[126:127]
	v_mul_f64 v[2:3], v[128:129], s[2:3]
	v_add_f64 v[120:121], v[0:1], v[120:121]
	s_mov_b32 s2, 0xd10d4986
	s_mov_b32 s3, 0x3f6c5894
	v_fma_f64 v[4:5], v[118:119], s[4:5], v[2:3]
	v_fma_f64 v[0:1], v[118:119], s[20:21], v[2:3]
	s_mul_hi_u32 s4, s0, 0x110
	v_add_f64 v[128:129], v[4:5], v[124:125]
	v_add_f64 v[122:123], v[0:1], v[116:117]
	ds_write_b128 v232, v[68:71]
	ds_write_b128 v232, v[76:79] offset:272
	ds_write_b128 v232, v[84:87] offset:544
	;; [unrolled: 1-line block ×16, first 2 shown]
	s_waitcnt lgkmcnt(0)
	s_barrier
	buffer_gl0_inv
	ds_read_b128 v[68:71], v232
	s_waitcnt lgkmcnt(0)
	v_mul_f64 v[0:1], v[66:67], v[70:71]
	v_fma_f64 v[0:1], v[64:65], v[68:69], v[0:1]
	v_mul_f64 v[72:73], v[0:1], s[2:3]
	v_mul_f64 v[0:1], v[66:67], v[68:69]
	v_fma_f64 v[0:1], v[64:65], v[70:71], -v[0:1]
	v_mul_f64 v[74:75], v[0:1], s[2:3]
	v_mad_u64_u32 v[0:1], null, s0, v255, 0
	s_mulk_i32 s0, 0x110
	v_mad_u64_u32 v[1:2], null, s1, v255, v[1:2]
	s_clause 0x1
	buffer_load_dword v2, off, s[56:59], 0 offset:64
	buffer_load_dword v3, off, s[56:59], 0 offset:68
	ds_read_b128 v[64:67], v232 offset:272
	s_mulk_i32 s1, 0x110
	s_add_i32 s1, s4, s1
	v_lshlrev_b64 v[0:1], 4, v[0:1]
	s_waitcnt vmcnt(0)
	v_lshlrev_b64 v[2:3], 4, v[2:3]
	v_add_co_u32 v2, vcc_lo, s12, v2
	v_add_co_ci_u32_e32 v3, vcc_lo, s13, v3, vcc_lo
	v_add_co_u32 v0, vcc_lo, v2, v0
	v_add_co_ci_u32_e32 v1, vcc_lo, v3, v1, vcc_lo
	s_waitcnt lgkmcnt(0)
	v_mul_f64 v[2:3], v[62:63], v[66:67]
	global_store_dwordx4 v[0:1], v[72:75], off
	v_add_co_u32 v0, vcc_lo, v0, s0
	v_add_co_ci_u32_e32 v1, vcc_lo, s1, v1, vcc_lo
	v_fma_f64 v[2:3], v[60:61], v[64:65], v[2:3]
	v_mul_f64 v[68:69], v[2:3], s[2:3]
	v_mul_f64 v[2:3], v[62:63], v[64:65]
	v_fma_f64 v[2:3], v[60:61], v[66:67], -v[2:3]
	ds_read_b128 v[60:63], v232 offset:544
	v_mul_f64 v[70:71], v[2:3], s[2:3]
	s_waitcnt lgkmcnt(0)
	v_mul_f64 v[2:3], v[38:39], v[62:63]
	global_store_dwordx4 v[0:1], v[68:71], off
	v_fma_f64 v[2:3], v[36:37], v[60:61], v[2:3]
	v_add_co_u32 v0, vcc_lo, v0, s0
	v_add_co_ci_u32_e32 v1, vcc_lo, s1, v1, vcc_lo
	v_mul_f64 v[64:65], v[2:3], s[2:3]
	v_mul_f64 v[2:3], v[38:39], v[60:61]
	v_fma_f64 v[2:3], v[36:37], v[62:63], -v[2:3]
	ds_read_b128 v[36:39], v232 offset:816
	v_mul_f64 v[66:67], v[2:3], s[2:3]
	s_waitcnt lgkmcnt(0)
	v_mul_f64 v[2:3], v[58:59], v[38:39]
	global_store_dwordx4 v[0:1], v[64:67], off
	v_fma_f64 v[2:3], v[56:57], v[36:37], v[2:3]
	v_add_co_u32 v0, vcc_lo, v0, s0
	v_add_co_ci_u32_e32 v1, vcc_lo, s1, v1, vcc_lo
	;; [unrolled: 11-line block ×10, first 2 shown]
	v_mul_f64 v[28:29], v[2:3], s[2:3]
	v_mul_f64 v[2:3], v[18:19], v[24:25]
	v_fma_f64 v[2:3], v[16:17], v[26:27], -v[2:3]
	ds_read_b128 v[16:19], v232 offset:3264
	v_mul_f64 v[30:31], v[2:3], s[2:3]
	global_store_dwordx4 v[0:1], v[28:31], off
	s_clause 0x3
	buffer_load_dword v4, off, s[56:59], 0 offset:48
	buffer_load_dword v5, off, s[56:59], 0 offset:52
	buffer_load_dword v6, off, s[56:59], 0 offset:56
	buffer_load_dword v7, off, s[56:59], 0 offset:60
	v_add_co_u32 v0, vcc_lo, v0, s0
	v_add_co_ci_u32_e32 v1, vcc_lo, s1, v1, vcc_lo
	ds_read_b128 v[12:15], v232 offset:3536
	s_waitcnt vmcnt(0) lgkmcnt(1)
	v_mul_f64 v[2:3], v[6:7], v[18:19]
	v_fma_f64 v[2:3], v[4:5], v[16:17], v[2:3]
	v_mul_f64 v[24:25], v[2:3], s[2:3]
	v_mul_f64 v[2:3], v[6:7], v[16:17]
	v_fma_f64 v[2:3], v[4:5], v[18:19], -v[2:3]
	v_mul_f64 v[26:27], v[2:3], s[2:3]
	global_store_dwordx4 v[0:1], v[24:27], off
	s_clause 0x3
	buffer_load_dword v4, off, s[56:59], 0 offset:32
	buffer_load_dword v5, off, s[56:59], 0 offset:36
	;; [unrolled: 1-line block ×4, first 2 shown]
	v_add_co_u32 v0, vcc_lo, v0, s0
	v_add_co_ci_u32_e32 v1, vcc_lo, s1, v1, vcc_lo
	ds_read_b128 v[8:11], v232 offset:3808
	s_waitcnt vmcnt(0) lgkmcnt(1)
	v_mul_f64 v[2:3], v[6:7], v[14:15]
	v_fma_f64 v[2:3], v[4:5], v[12:13], v[2:3]
	v_mul_f64 v[16:17], v[2:3], s[2:3]
	v_mul_f64 v[2:3], v[6:7], v[12:13]
	v_fma_f64 v[2:3], v[4:5], v[14:15], -v[2:3]
	v_mul_f64 v[18:19], v[2:3], s[2:3]
	global_store_dwordx4 v[0:1], v[16:19], off
	s_clause 0x3
	buffer_load_dword v4, off, s[56:59], 0 offset:16
	buffer_load_dword v5, off, s[56:59], 0 offset:20
	;; [unrolled: 1-line block ×4, first 2 shown]
	v_add_co_u32 v0, vcc_lo, v0, s0
	v_add_co_ci_u32_e32 v1, vcc_lo, s1, v1, vcc_lo
	s_waitcnt vmcnt(0) lgkmcnt(0)
	v_mul_f64 v[2:3], v[6:7], v[10:11]
	v_fma_f64 v[2:3], v[4:5], v[8:9], v[2:3]
	v_mul_f64 v[12:13], v[2:3], s[2:3]
	v_mul_f64 v[2:3], v[6:7], v[8:9]
	v_fma_f64 v[2:3], v[4:5], v[10:11], -v[2:3]
	ds_read_b128 v[4:7], v232 offset:4080
	v_mul_f64 v[14:15], v[2:3], s[2:3]
	global_store_dwordx4 v[0:1], v[12:15], off
	s_clause 0x3
	buffer_load_dword v10, off, s[56:59], 0
	buffer_load_dword v11, off, s[56:59], 0 offset:4
	buffer_load_dword v12, off, s[56:59], 0 offset:8
	;; [unrolled: 1-line block ×3, first 2 shown]
	s_waitcnt vmcnt(0) lgkmcnt(0)
	v_mul_f64 v[2:3], v[12:13], v[6:7]
	v_fma_f64 v[2:3], v[10:11], v[4:5], v[2:3]
	v_mul_f64 v[8:9], v[2:3], s[2:3]
	v_mul_f64 v[2:3], v[12:13], v[4:5]
	v_add_co_u32 v12, vcc_lo, v0, s0
	v_add_co_ci_u32_e32 v13, vcc_lo, s1, v1, vcc_lo
	v_fma_f64 v[2:3], v[10:11], v[6:7], -v[2:3]
	v_mul_f64 v[10:11], v[2:3], s[2:3]
	ds_read_b128 v[0:3], v232 offset:4352
	s_waitcnt lgkmcnt(0)
	v_mul_f64 v[4:5], v[22:23], v[2:3]
	global_store_dwordx4 v[12:13], v[8:11], off
	v_fma_f64 v[4:5], v[20:21], v[0:1], v[4:5]
	v_mul_f64 v[0:1], v[22:23], v[0:1]
	v_mul_f64 v[4:5], v[4:5], s[2:3]
	v_fma_f64 v[0:1], v[20:21], v[2:3], -v[0:1]
	v_mul_f64 v[6:7], v[0:1], s[2:3]
	v_add_co_u32 v0, vcc_lo, v12, s0
	v_add_co_ci_u32_e32 v1, vcc_lo, s1, v13, vcc_lo
	global_store_dwordx4 v[0:1], v[4:7], off
.LBB0_2:
	s_endpgm
	.section	.rodata,"a",@progbits
	.p2align	6, 0x0
	.amdhsa_kernel bluestein_single_fwd_len289_dim1_dp_op_CI_CI
		.amdhsa_group_segment_fixed_size 32368
		.amdhsa_private_segment_fixed_size 76
		.amdhsa_kernarg_size 104
		.amdhsa_user_sgpr_count 6
		.amdhsa_user_sgpr_private_segment_buffer 1
		.amdhsa_user_sgpr_dispatch_ptr 0
		.amdhsa_user_sgpr_queue_ptr 0
		.amdhsa_user_sgpr_kernarg_segment_ptr 1
		.amdhsa_user_sgpr_dispatch_id 0
		.amdhsa_user_sgpr_flat_scratch_init 0
		.amdhsa_user_sgpr_private_segment_size 0
		.amdhsa_wavefront_size32 1
		.amdhsa_uses_dynamic_stack 0
		.amdhsa_system_sgpr_private_segment_wavefront_offset 1
		.amdhsa_system_sgpr_workgroup_id_x 1
		.amdhsa_system_sgpr_workgroup_id_y 0
		.amdhsa_system_sgpr_workgroup_id_z 0
		.amdhsa_system_sgpr_workgroup_info 0
		.amdhsa_system_vgpr_workitem_id 0
		.amdhsa_next_free_vgpr 256
		.amdhsa_next_free_sgpr 60
		.amdhsa_reserve_vcc 1
		.amdhsa_reserve_flat_scratch 0
		.amdhsa_float_round_mode_32 0
		.amdhsa_float_round_mode_16_64 0
		.amdhsa_float_denorm_mode_32 3
		.amdhsa_float_denorm_mode_16_64 3
		.amdhsa_dx10_clamp 1
		.amdhsa_ieee_mode 1
		.amdhsa_fp16_overflow 0
		.amdhsa_workgroup_processor_mode 1
		.amdhsa_memory_ordered 1
		.amdhsa_forward_progress 0
		.amdhsa_shared_vgpr_count 0
		.amdhsa_exception_fp_ieee_invalid_op 0
		.amdhsa_exception_fp_denorm_src 0
		.amdhsa_exception_fp_ieee_div_zero 0
		.amdhsa_exception_fp_ieee_overflow 0
		.amdhsa_exception_fp_ieee_underflow 0
		.amdhsa_exception_fp_ieee_inexact 0
		.amdhsa_exception_int_div_zero 0
	.end_amdhsa_kernel
	.text
.Lfunc_end0:
	.size	bluestein_single_fwd_len289_dim1_dp_op_CI_CI, .Lfunc_end0-bluestein_single_fwd_len289_dim1_dp_op_CI_CI
                                        ; -- End function
	.section	.AMDGPU.csdata,"",@progbits
; Kernel info:
; codeLenInByte = 29788
; NumSgprs: 62
; NumVgprs: 256
; ScratchSize: 76
; MemoryBound: 0
; FloatMode: 240
; IeeeMode: 1
; LDSByteSize: 32368 bytes/workgroup (compile time only)
; SGPRBlocks: 7
; VGPRBlocks: 31
; NumSGPRsForWavesPerEU: 62
; NumVGPRsForWavesPerEU: 256
; Occupancy: 4
; WaveLimiterHint : 1
; COMPUTE_PGM_RSRC2:SCRATCH_EN: 1
; COMPUTE_PGM_RSRC2:USER_SGPR: 6
; COMPUTE_PGM_RSRC2:TRAP_HANDLER: 0
; COMPUTE_PGM_RSRC2:TGID_X_EN: 1
; COMPUTE_PGM_RSRC2:TGID_Y_EN: 0
; COMPUTE_PGM_RSRC2:TGID_Z_EN: 0
; COMPUTE_PGM_RSRC2:TIDIG_COMP_CNT: 0
	.text
	.p2alignl 6, 3214868480
	.fill 48, 4, 3214868480
	.type	__hip_cuid_306d3c349cc19b74,@object ; @__hip_cuid_306d3c349cc19b74
	.section	.bss,"aw",@nobits
	.globl	__hip_cuid_306d3c349cc19b74
__hip_cuid_306d3c349cc19b74:
	.byte	0                               ; 0x0
	.size	__hip_cuid_306d3c349cc19b74, 1

	.ident	"AMD clang version 19.0.0git (https://github.com/RadeonOpenCompute/llvm-project roc-6.4.0 25133 c7fe45cf4b819c5991fe208aaa96edf142730f1d)"
	.section	".note.GNU-stack","",@progbits
	.addrsig
	.addrsig_sym __hip_cuid_306d3c349cc19b74
	.amdgpu_metadata
---
amdhsa.kernels:
  - .args:
      - .actual_access:  read_only
        .address_space:  global
        .offset:         0
        .size:           8
        .value_kind:     global_buffer
      - .actual_access:  read_only
        .address_space:  global
        .offset:         8
        .size:           8
        .value_kind:     global_buffer
      - .actual_access:  read_only
        .address_space:  global
        .offset:         16
        .size:           8
        .value_kind:     global_buffer
      - .actual_access:  read_only
        .address_space:  global
        .offset:         24
        .size:           8
        .value_kind:     global_buffer
      - .actual_access:  read_only
        .address_space:  global
        .offset:         32
        .size:           8
        .value_kind:     global_buffer
      - .offset:         40
        .size:           8
        .value_kind:     by_value
      - .address_space:  global
        .offset:         48
        .size:           8
        .value_kind:     global_buffer
      - .address_space:  global
        .offset:         56
        .size:           8
        .value_kind:     global_buffer
      - .address_space:  global
        .offset:         64
        .size:           8
        .value_kind:     global_buffer
      - .address_space:  global
        .offset:         72
        .size:           8
        .value_kind:     global_buffer
      - .offset:         80
        .size:           4
        .value_kind:     by_value
      - .address_space:  global
        .offset:         88
        .size:           8
        .value_kind:     global_buffer
      - .address_space:  global
        .offset:         96
        .size:           8
        .value_kind:     global_buffer
    .group_segment_fixed_size: 32368
    .kernarg_segment_align: 8
    .kernarg_segment_size: 104
    .language:       OpenCL C
    .language_version:
      - 2
      - 0
    .max_flat_workgroup_size: 119
    .name:           bluestein_single_fwd_len289_dim1_dp_op_CI_CI
    .private_segment_fixed_size: 76
    .sgpr_count:     62
    .sgpr_spill_count: 0
    .symbol:         bluestein_single_fwd_len289_dim1_dp_op_CI_CI.kd
    .uniform_work_group_size: 1
    .uses_dynamic_stack: false
    .vgpr_count:     256
    .vgpr_spill_count: 18
    .wavefront_size: 32
    .workgroup_processor_mode: 1
amdhsa.target:   amdgcn-amd-amdhsa--gfx1030
amdhsa.version:
  - 1
  - 2
...

	.end_amdgpu_metadata
